;; amdgpu-corpus repo=ROCm/rocFFT kind=compiled arch=gfx950 opt=O3
	.text
	.amdgcn_target "amdgcn-amd-amdhsa--gfx950"
	.amdhsa_code_object_version 6
	.protected	fft_rtc_back_len3645_factors_5_3_3_3_3_3_3_wgs_243_tpt_243_halfLds_half_op_CI_CI_unitstride_sbrr_dirReg ; -- Begin function fft_rtc_back_len3645_factors_5_3_3_3_3_3_3_wgs_243_tpt_243_halfLds_half_op_CI_CI_unitstride_sbrr_dirReg
	.globl	fft_rtc_back_len3645_factors_5_3_3_3_3_3_3_wgs_243_tpt_243_halfLds_half_op_CI_CI_unitstride_sbrr_dirReg
	.p2align	8
	.type	fft_rtc_back_len3645_factors_5_3_3_3_3_3_3_wgs_243_tpt_243_halfLds_half_op_CI_CI_unitstride_sbrr_dirReg,@function
fft_rtc_back_len3645_factors_5_3_3_3_3_3_3_wgs_243_tpt_243_halfLds_half_op_CI_CI_unitstride_sbrr_dirReg: ; @fft_rtc_back_len3645_factors_5_3_3_3_3_3_3_wgs_243_tpt_243_halfLds_half_op_CI_CI_unitstride_sbrr_dirReg
; %bb.0:
	s_load_dwordx4 s[4:7], s[0:1], 0x58
	s_load_dwordx4 s[8:11], s[0:1], 0x0
	;; [unrolled: 1-line block ×3, first 2 shown]
	v_mul_u32_u24_e32 v1, 0x10e, v0
	v_add_u32_sdwa v10, s2, v1 dst_sel:DWORD dst_unused:UNUSED_PAD src0_sel:DWORD src1_sel:WORD_1
	v_mov_b32_e32 v8, 0
	s_waitcnt lgkmcnt(0)
	v_cmp_lt_u64_e64 s[2:3], s[10:11], 2
	v_mov_b32_e32 v11, v8
	s_and_b64 vcc, exec, s[2:3]
	v_mov_b64_e32 v[6:7], 0
	s_cbranch_vccnz .LBB0_8
; %bb.1:
	s_load_dwordx2 s[2:3], s[0:1], 0x10
	s_add_u32 s16, s14, 8
	s_addc_u32 s17, s15, 0
	s_add_u32 s18, s12, 8
	s_addc_u32 s19, s13, 0
	s_waitcnt lgkmcnt(0)
	s_add_u32 s20, s2, 8
	v_mov_b64_e32 v[6:7], 0
	s_addc_u32 s21, s3, 0
	s_mov_b64 s[22:23], 1
	v_mov_b64_e32 v[2:3], v[6:7]
.LBB0_2:                                ; =>This Inner Loop Header: Depth=1
	s_load_dwordx2 s[24:25], s[20:21], 0x0
                                        ; implicit-def: $vgpr4_vgpr5
	s_waitcnt lgkmcnt(0)
	v_or_b32_e32 v9, s25, v11
	v_cmp_ne_u64_e32 vcc, 0, v[8:9]
	s_and_saveexec_b64 s[2:3], vcc
	s_xor_b64 s[26:27], exec, s[2:3]
	s_cbranch_execz .LBB0_4
; %bb.3:                                ;   in Loop: Header=BB0_2 Depth=1
	v_cvt_f32_u32_e32 v1, s24
	v_cvt_f32_u32_e32 v4, s25
	s_sub_u32 s2, 0, s24
	s_subb_u32 s3, 0, s25
	v_fmac_f32_e32 v1, 0x4f800000, v4
	v_rcp_f32_e32 v1, v1
	s_nop 0
	v_mul_f32_e32 v1, 0x5f7ffffc, v1
	v_mul_f32_e32 v4, 0x2f800000, v1
	v_trunc_f32_e32 v4, v4
	v_fmac_f32_e32 v1, 0xcf800000, v4
	v_cvt_u32_f32_e32 v9, v4
	v_cvt_u32_f32_e32 v1, v1
	v_mul_lo_u32 v4, s2, v9
	v_mul_hi_u32 v12, s2, v1
	v_mul_lo_u32 v5, s3, v1
	v_add_u32_e32 v12, v12, v4
	v_mul_lo_u32 v14, s2, v1
	v_add_u32_e32 v15, v12, v5
	v_mul_hi_u32 v4, v1, v14
	v_mul_hi_u32 v13, v1, v15
	v_mul_lo_u32 v12, v1, v15
	v_mov_b32_e32 v5, v8
	v_lshl_add_u64 v[4:5], v[4:5], 0, v[12:13]
	v_mul_hi_u32 v13, v9, v14
	v_mul_lo_u32 v14, v9, v14
	v_add_co_u32_e32 v4, vcc, v4, v14
	v_mul_hi_u32 v12, v9, v15
	s_nop 0
	v_addc_co_u32_e32 v4, vcc, v5, v13, vcc
	v_mov_b32_e32 v5, v8
	s_nop 0
	v_addc_co_u32_e32 v13, vcc, 0, v12, vcc
	v_mul_lo_u32 v12, v9, v15
	v_lshl_add_u64 v[4:5], v[4:5], 0, v[12:13]
	v_add_co_u32_e32 v1, vcc, v1, v4
	v_mul_lo_u32 v12, s2, v1
	s_nop 0
	v_addc_co_u32_e32 v9, vcc, v9, v5, vcc
	v_mul_lo_u32 v4, s2, v9
	v_mul_hi_u32 v5, s2, v1
	v_add_u32_e32 v4, v5, v4
	v_mul_lo_u32 v5, s3, v1
	v_add_u32_e32 v14, v4, v5
	v_mul_hi_u32 v16, v9, v12
	v_mul_lo_u32 v17, v9, v12
	v_mul_hi_u32 v5, v1, v14
	v_mul_lo_u32 v4, v1, v14
	v_mul_hi_u32 v12, v1, v12
	v_mov_b32_e32 v13, v8
	v_lshl_add_u64 v[4:5], v[12:13], 0, v[4:5]
	v_add_co_u32_e32 v4, vcc, v4, v17
	v_mul_hi_u32 v15, v9, v14
	s_nop 0
	v_addc_co_u32_e32 v4, vcc, v5, v16, vcc
	v_mul_lo_u32 v12, v9, v14
	s_nop 0
	v_addc_co_u32_e32 v13, vcc, 0, v15, vcc
	v_mov_b32_e32 v5, v8
	v_lshl_add_u64 v[4:5], v[4:5], 0, v[12:13]
	v_add_co_u32_e32 v1, vcc, v1, v4
	v_mul_hi_u32 v12, v10, v1
	s_nop 0
	v_addc_co_u32_e32 v9, vcc, v9, v5, vcc
	v_mad_u64_u32 v[4:5], s[2:3], v10, v9, 0
	v_mov_b32_e32 v13, v8
	v_lshl_add_u64 v[4:5], v[12:13], 0, v[4:5]
	v_mad_u64_u32 v[14:15], s[2:3], v11, v1, 0
	v_add_co_u32_e32 v1, vcc, v4, v14
	v_mad_u64_u32 v[12:13], s[2:3], v11, v9, 0
	s_nop 0
	v_addc_co_u32_e32 v4, vcc, v5, v15, vcc
	v_mov_b32_e32 v5, v8
	s_nop 0
	v_addc_co_u32_e32 v13, vcc, 0, v13, vcc
	v_lshl_add_u64 v[4:5], v[4:5], 0, v[12:13]
	v_mul_lo_u32 v1, s25, v4
	v_mul_lo_u32 v9, s24, v5
	v_mad_u64_u32 v[12:13], s[2:3], s24, v4, 0
	v_add3_u32 v1, v13, v9, v1
	v_sub_u32_e32 v9, v11, v1
	v_mov_b32_e32 v13, s25
	v_sub_co_u32_e32 v16, vcc, v10, v12
	v_lshl_add_u64 v[14:15], v[4:5], 0, 1
	s_nop 0
	v_subb_co_u32_e64 v9, s[2:3], v9, v13, vcc
	v_subrev_co_u32_e64 v12, s[2:3], s24, v16
	v_subb_co_u32_e32 v1, vcc, v11, v1, vcc
	s_nop 0
	v_subbrev_co_u32_e64 v9, s[2:3], 0, v9, s[2:3]
	v_cmp_le_u32_e64 s[2:3], s25, v9
	v_cmp_le_u32_e32 vcc, s25, v1
	s_nop 0
	v_cndmask_b32_e64 v13, 0, -1, s[2:3]
	v_cmp_le_u32_e64 s[2:3], s24, v12
	s_nop 1
	v_cndmask_b32_e64 v12, 0, -1, s[2:3]
	v_cmp_eq_u32_e64 s[2:3], s25, v9
	s_nop 1
	v_cndmask_b32_e64 v9, v13, v12, s[2:3]
	v_lshl_add_u64 v[12:13], v[4:5], 0, 2
	v_cmp_ne_u32_e64 s[2:3], 0, v9
	s_nop 1
	v_cndmask_b32_e64 v9, v15, v13, s[2:3]
	v_cndmask_b32_e64 v13, 0, -1, vcc
	v_cmp_le_u32_e32 vcc, s24, v16
	s_nop 1
	v_cndmask_b32_e64 v15, 0, -1, vcc
	v_cmp_eq_u32_e32 vcc, s25, v1
	s_nop 1
	v_cndmask_b32_e32 v1, v13, v15, vcc
	v_cmp_ne_u32_e32 vcc, 0, v1
	v_cndmask_b32_e64 v1, v14, v12, s[2:3]
	s_nop 0
	v_cndmask_b32_e32 v5, v5, v9, vcc
	v_cndmask_b32_e32 v4, v4, v1, vcc
.LBB0_4:                                ;   in Loop: Header=BB0_2 Depth=1
	s_andn2_saveexec_b64 s[2:3], s[26:27]
	s_cbranch_execz .LBB0_6
; %bb.5:                                ;   in Loop: Header=BB0_2 Depth=1
	v_cvt_f32_u32_e32 v1, s24
	s_sub_i32 s26, 0, s24
	v_rcp_iflag_f32_e32 v1, v1
	s_nop 0
	v_mul_f32_e32 v1, 0x4f7ffffe, v1
	v_cvt_u32_f32_e32 v1, v1
	v_mul_lo_u32 v4, s26, v1
	v_mul_hi_u32 v4, v1, v4
	v_add_u32_e32 v1, v1, v4
	v_mul_hi_u32 v1, v10, v1
	v_mul_lo_u32 v4, v1, s24
	v_sub_u32_e32 v4, v10, v4
	v_add_u32_e32 v5, 1, v1
	v_subrev_u32_e32 v9, s24, v4
	v_cmp_le_u32_e32 vcc, s24, v4
	s_nop 1
	v_cndmask_b32_e32 v4, v4, v9, vcc
	v_cndmask_b32_e32 v1, v1, v5, vcc
	v_add_u32_e32 v5, 1, v1
	v_cmp_le_u32_e32 vcc, s24, v4
	s_nop 1
	v_cndmask_b32_e32 v4, v1, v5, vcc
	v_mov_b32_e32 v5, v8
.LBB0_6:                                ;   in Loop: Header=BB0_2 Depth=1
	s_or_b64 exec, exec, s[2:3]
	v_mad_u64_u32 v[12:13], s[2:3], v4, s24, 0
	s_load_dwordx2 s[2:3], s[18:19], 0x0
	v_mul_lo_u32 v1, v5, s24
	v_mul_lo_u32 v9, v4, s25
	s_load_dwordx2 s[24:25], s[16:17], 0x0
	s_add_u32 s22, s22, 1
	v_add3_u32 v1, v13, v9, v1
	v_sub_co_u32_e32 v9, vcc, v10, v12
	s_addc_u32 s23, s23, 0
	s_nop 0
	v_subb_co_u32_e32 v1, vcc, v11, v1, vcc
	s_add_u32 s16, s16, 8
	s_waitcnt lgkmcnt(0)
	v_mul_lo_u32 v10, s2, v1
	v_mul_lo_u32 v11, s3, v9
	v_mad_u64_u32 v[6:7], s[2:3], s2, v9, v[6:7]
	s_addc_u32 s17, s17, 0
	v_add3_u32 v7, v11, v7, v10
	v_mul_lo_u32 v1, s24, v1
	v_mul_lo_u32 v10, s25, v9
	v_mad_u64_u32 v[2:3], s[2:3], s24, v9, v[2:3]
	s_add_u32 s18, s18, 8
	v_add3_u32 v3, v10, v3, v1
	s_addc_u32 s19, s19, 0
	v_mov_b64_e32 v[10:11], s[10:11]
	s_add_u32 s20, s20, 8
	v_cmp_ge_u64_e32 vcc, s[22:23], v[10:11]
	s_addc_u32 s21, s21, 0
	s_cbranch_vccnz .LBB0_9
; %bb.7:                                ;   in Loop: Header=BB0_2 Depth=1
	v_mov_b64_e32 v[10:11], v[4:5]
	s_branch .LBB0_2
.LBB0_8:
	v_mov_b64_e32 v[2:3], v[6:7]
	v_mov_b64_e32 v[4:5], v[10:11]
.LBB0_9:
	s_load_dwordx2 s[0:1], s[0:1], 0x28
	s_lshl_b64 s[16:17], s[10:11], 3
	s_add_u32 s2, s14, s16
	s_addc_u32 s3, s15, s17
                                        ; implicit-def: $vgpr8
	s_waitcnt lgkmcnt(0)
	v_cmp_gt_u64_e32 vcc, s[0:1], v[4:5]
	v_cmp_le_u64_e64 s[0:1], s[0:1], v[4:5]
	s_and_saveexec_b64 s[10:11], s[0:1]
	s_xor_b64 s[0:1], exec, s[10:11]
; %bb.10:
	s_mov_b32 s10, 0x10db20b
	v_mul_hi_u32 v1, v0, s10
	v_mul_u32_u24_e32 v1, 0xf3, v1
	v_sub_u32_e32 v8, v0, v1
                                        ; implicit-def: $vgpr0
                                        ; implicit-def: $vgpr6_vgpr7
; %bb.11:
	s_or_saveexec_b64 s[10:11], s[0:1]
                                        ; implicit-def: $vgpr12
                                        ; implicit-def: $vgpr9
                                        ; implicit-def: $vgpr13
                                        ; implicit-def: $vgpr10
                                        ; implicit-def: $vgpr14
                                        ; implicit-def: $vgpr11
                                        ; implicit-def: $vgpr15
                                        ; implicit-def: $vgpr1
                                        ; implicit-def: $vgpr17
                                        ; implicit-def: $vgpr16
                                        ; implicit-def: $vgpr23
                                        ; implicit-def: $vgpr22
                                        ; implicit-def: $vgpr24
                                        ; implicit-def: $vgpr20
                                        ; implicit-def: $vgpr26
                                        ; implicit-def: $vgpr19
                                        ; implicit-def: $vgpr25
                                        ; implicit-def: $vgpr18
                                        ; implicit-def: $vgpr27
                                        ; implicit-def: $vgpr21
                                        ; implicit-def: $vgpr33
                                        ; implicit-def: $vgpr28
                                        ; implicit-def: $vgpr34
                                        ; implicit-def: $vgpr31
                                        ; implicit-def: $vgpr36
                                        ; implicit-def: $vgpr30
                                        ; implicit-def: $vgpr35
                                        ; implicit-def: $vgpr29
                                        ; implicit-def: $vgpr37
                                        ; implicit-def: $vgpr32
	s_xor_b64 exec, exec, s[10:11]
	s_cbranch_execz .LBB0_13
; %bb.12:
	s_add_u32 s0, s12, s16
	s_addc_u32 s1, s13, s17
	s_load_dwordx2 s[0:1], s[0:1], 0x0
	s_mov_b32 s12, 0x10db20b
	s_waitcnt lgkmcnt(0)
	v_mul_lo_u32 v1, s1, v4
	v_mul_lo_u32 v8, s0, v5
	v_mad_u64_u32 v[10:11], s[0:1], s0, v4, 0
	v_add3_u32 v11, v11, v8, v1
	v_mul_hi_u32 v1, v0, s12
	v_mul_u32_u24_e32 v1, 0xf3, v1
	v_sub_u32_e32 v8, v0, v1
	v_lshl_add_u64 v[0:1], v[10:11], 2, s[4:5]
	v_lshl_add_u64 v[0:1], v[6:7], 2, v[0:1]
	v_lshlrev_b32_e32 v6, 2, v8
	v_mov_b32_e32 v7, 0
	v_lshl_add_u64 v[6:7], v[0:1], 0, v[6:7]
	s_movk_i32 s0, 0x1000
	v_add_co_u32_e64 v12, s[0:1], s0, v6
	s_nop 1
	v_addc_co_u32_e64 v13, s[0:1], 0, v7, s[0:1]
	s_movk_i32 s0, 0x2000
	s_nop 0
	v_add_co_u32_e64 v14, s[0:1], s0, v6
	s_nop 1
	v_addc_co_u32_e64 v15, s[0:1], 0, v7, s[0:1]
	s_movk_i32 s0, 0x3000
	s_nop 0
	v_add_co_u32_e64 v24, s[0:1], s0, v6
	global_load_dword v28, v[14:15], off offset:3472
	global_load_dword v32, v[6:7], off
	global_load_dword v21, v[6:7], off offset:972
	global_load_dword v29, v[6:7], off offset:2916
	;; [unrolled: 1-line block ×7, first 2 shown]
	v_addc_co_u32_e64 v25, s[0:1], 0, v7, s[0:1]
	global_load_dword v1, v[12:13], off offset:764
	global_load_dword v16, v[6:7], off offset:1944
	;; [unrolled: 1-line block ×6, first 2 shown]
	s_waitcnt vmcnt(14)
	v_lshrrev_b32_e32 v33, 16, v28
	s_waitcnt vmcnt(13)
	v_lshrrev_b32_e32 v37, 16, v32
	;; [unrolled: 2-line block ×10, first 2 shown]
	v_lshrrev_b32_e32 v17, 16, v16
	v_lshrrev_b32_e32 v15, 16, v1
	s_waitcnt vmcnt(0)
	v_lshrrev_b32_e32 v14, 16, v11
	v_lshrrev_b32_e32 v13, 16, v10
	;; [unrolled: 1-line block ×3, first 2 shown]
.LBB0_13:
	s_or_b64 exec, exec, s[10:11]
	v_add_f16_e32 v6, v31, v30
	v_fma_f16 v6, v6, -0.5, v32
	v_sub_f16_e32 v7, v35, v33
	s_mov_b32 s0, 0xbb9c
	s_movk_i32 s5, 0x3b9c
	v_fma_f16 v38, v7, s0, v6
	v_sub_f16_e32 v39, v36, v34
	s_mov_b32 s1, 0xb8b4
	v_sub_f16_e32 v40, v29, v30
	v_sub_f16_e32 v41, v28, v31
	v_fma_f16 v6, v7, s5, v6
	s_movk_i32 s10, 0x38b4
	v_fma_f16 v38, v39, s1, v38
	v_add_f16_e32 v40, v41, v40
	s_movk_i32 s4, 0x34f2
	v_fma_f16 v6, v39, s10, v6
	v_add_f16_e32 v0, v29, v32
	v_fma_f16 v38, v40, s4, v38
	v_fma_f16 v6, v40, s4, v6
	v_add_f16_e32 v40, v28, v29
	v_add_f16_e32 v0, v30, v0
	v_fma_f16 v32, v40, -0.5, v32
	v_add_f16_e32 v0, v31, v0
	v_fma_f16 v40, v39, s5, v32
	v_fma_f16 v32, v39, s0, v32
	v_add_f16_e32 v39, v34, v36
	v_add_f16_e32 v0, v28, v0
	v_sub_f16_e32 v41, v30, v29
	v_sub_f16_e32 v42, v31, v28
	v_fma_f16 v39, v39, -0.5, v37
	v_sub_f16_e32 v28, v29, v28
	v_add_f16_e32 v41, v42, v41
	v_fma_f16 v29, v28, s5, v39
	v_sub_f16_e32 v30, v30, v31
	v_sub_f16_e32 v31, v35, v36
	;; [unrolled: 1-line block ×3, first 2 shown]
	v_fma_f16 v39, v28, s0, v39
	v_fma_f16 v40, v7, s1, v40
	;; [unrolled: 1-line block ×3, first 2 shown]
	v_add_f16_e32 v32, v35, v37
	v_fma_f16 v29, v30, s10, v29
	v_add_f16_e32 v31, v42, v31
	v_fma_f16 v39, v30, s1, v39
	;; [unrolled: 2-line block ×3, first 2 shown]
	v_fma_f16 v31, v31, s4, v39
	v_add_f16_e32 v39, v33, v35
	v_add_f16_e32 v32, v34, v32
	v_fma_f16 v37, v39, -0.5, v37
	v_add_f16_e32 v32, v33, v32
	v_fma_f16 v39, v30, s0, v37
	v_sub_f16_e32 v35, v36, v35
	v_sub_f16_e32 v33, v34, v33
	v_fma_f16 v30, v30, s5, v37
	v_fma_f16 v39, v28, s10, v39
	v_add_f16_e32 v33, v33, v35
	v_fma_f16 v28, v28, s1, v30
	v_fma_f16 v34, v33, s4, v39
	;; [unrolled: 1-line block ×3, first 2 shown]
	v_add_f16_e32 v33, v20, v19
	v_fma_f16 v33, v33, -0.5, v21
	v_sub_f16_e32 v35, v25, v23
	v_fma_f16 v36, v35, s0, v33
	v_sub_f16_e32 v37, v26, v24
	v_sub_f16_e32 v39, v18, v19
	;; [unrolled: 1-line block ×3, first 2 shown]
	v_fma_f16 v33, v35, s5, v33
	v_fma_f16 v36, v37, s1, v36
	v_add_f16_e32 v39, v42, v39
	v_fma_f16 v33, v37, s10, v33
	v_fma_f16 v36, v39, s4, v36
	;; [unrolled: 1-line block ×3, first 2 shown]
	v_add_f16_e32 v39, v22, v18
	v_add_f16_e32 v30, v18, v21
	v_fma_f16 v21, v39, -0.5, v21
	v_add_f16_e32 v30, v19, v30
	v_fma_f16 v39, v37, s5, v21
	v_fma_f16 v21, v37, s0, v21
	v_add_f16_e32 v37, v24, v26
	v_add_f16_e32 v30, v20, v30
	v_sub_f16_e32 v42, v19, v18
	v_fma_f16 v37, v37, -0.5, v27
	v_sub_f16_e32 v18, v18, v22
	v_add_f16_e32 v30, v22, v30
	v_sub_f16_e32 v43, v20, v22
	v_fma_f16 v22, v18, s5, v37
	v_sub_f16_e32 v19, v19, v20
	v_add_f16_e32 v42, v43, v42
	v_fma_f16 v20, v19, s10, v22
	v_sub_f16_e32 v22, v25, v26
	v_sub_f16_e32 v43, v23, v24
	v_fma_f16 v37, v18, s0, v37
	v_fma_f16 v39, v35, s1, v39
	;; [unrolled: 1-line block ×3, first 2 shown]
	v_add_f16_e32 v35, v25, v27
	v_add_f16_e32 v22, v43, v22
	v_fma_f16 v37, v19, s1, v37
	v_add_f16_e32 v35, v26, v35
	v_fma_f16 v20, v22, s4, v20
	v_fma_f16 v22, v22, s4, v37
	v_add_f16_e32 v37, v23, v25
	v_add_f16_e32 v35, v24, v35
	v_fma_f16 v27, v37, -0.5, v27
	v_add_f16_e32 v35, v23, v35
	v_fma_f16 v37, v19, s0, v27
	v_sub_f16_e32 v25, v26, v25
	v_sub_f16_e32 v23, v24, v23
	v_fma_f16 v19, v19, s5, v27
	v_fma_f16 v37, v18, s10, v37
	v_add_f16_e32 v23, v23, v25
	v_fma_f16 v18, v18, s1, v19
	v_fma_f16 v24, v23, s4, v37
	;; [unrolled: 1-line block ×3, first 2 shown]
	v_add_f16_e32 v23, v10, v11
	v_fma_f16 v23, v23, -0.5, v16
	v_sub_f16_e32 v25, v15, v12
	v_fma_f16 v26, v25, s0, v23
	v_sub_f16_e32 v27, v14, v13
	v_sub_f16_e32 v37, v1, v11
	;; [unrolled: 1-line block ×3, first 2 shown]
	v_fma_f16 v23, v25, s5, v23
	v_fma_f16 v26, v27, s1, v26
	v_add_f16_e32 v37, v43, v37
	v_fma_f16 v23, v27, s10, v23
	v_fma_f16 v26, v37, s4, v26
	;; [unrolled: 1-line block ×3, first 2 shown]
	v_add_f16_e32 v37, v9, v1
	v_add_f16_e32 v19, v1, v16
	v_fma_f16 v16, v37, -0.5, v16
	v_add_f16_e32 v19, v11, v19
	v_fma_f16 v37, v27, s5, v16
	v_fma_f16 v16, v27, s0, v16
	v_add_f16_e32 v27, v13, v14
	v_add_f16_e32 v19, v10, v19
	v_sub_f16_e32 v43, v11, v1
	v_sub_f16_e32 v44, v10, v9
	v_fma_f16 v27, v27, -0.5, v17
	v_sub_f16_e32 v1, v1, v9
	v_add_f16_e32 v19, v9, v19
	v_add_f16_e32 v43, v44, v43
	v_fma_f16 v9, v1, s5, v27
	v_sub_f16_e32 v10, v11, v10
	v_sub_f16_e32 v11, v15, v14
	;; [unrolled: 1-line block ×3, first 2 shown]
	v_fma_f16 v9, v10, s10, v9
	v_add_f16_e32 v11, v44, v11
	v_fma_f16 v44, v11, s4, v9
	v_fma_f16 v9, v1, s0, v27
	;; [unrolled: 1-line block ×4, first 2 shown]
	v_add_f16_e32 v25, v15, v17
	v_fma_f16 v9, v10, s1, v9
	v_add_f16_e32 v25, v14, v25
	v_fma_f16 v27, v11, s4, v9
	v_add_f16_e32 v9, v12, v15
	v_add_f16_e32 v25, v13, v25
	v_fma_f16 v9, v9, -0.5, v17
	v_add_f16_e32 v25, v12, v25
	v_fma_f16 v11, v10, s0, v9
	v_sub_f16_e32 v14, v14, v15
	v_sub_f16_e32 v12, v13, v12
	v_fma_f16 v9, v10, s5, v9
	v_fma_f16 v11, v1, s10, v11
	v_add_f16_e32 v12, v12, v14
	v_fma_f16 v1, v1, s1, v9
	v_mul_f16_e32 v41, 0x34f2, v41
	v_fma_f16 v17, v12, s4, v11
	v_fma_f16 v12, v12, s4, v1
	v_pack_b32_f16 v1, v40, v7
	v_mad_u32_u24 v45, v8, 10, 0
	v_pk_add_f16 v1, v41, v1 op_sel_hi:[0,1]
	v_pack_b32_f16 v0, v0, v38
	s_load_dwordx2 s[2:3], s[2:3], 0x0
	v_mul_f16_e32 v42, 0x34f2, v42
	ds_write_b64 v45, v[0:1]
	ds_write_b16 v45, v6 offset:8
	v_pack_b32_f16 v0, v39, v21
	v_pk_add_f16 v1, v42, v0 op_sel_hi:[0,1]
	v_pack_b32_f16 v0, v30, v36
	v_mul_f16_e32 v43, 0x34f2, v43
	ds_write_b64 v45, v[0:1] offset:2430
	ds_write_b16 v45, v33 offset:2438
	v_add_u32_e32 v11, 0x1e6, v8
	v_pack_b32_f16 v0, v37, v16
	v_mad_u32_u24 v10, v11, 10, 0
	v_pk_add_f16 v1, v43, v0 op_sel_hi:[0,1]
	v_pack_b32_f16 v0, v19, v26
	ds_write_b64 v10, v[0:1]
	ds_write_b16 v10, v23 offset:8
	v_lshlrev_b32_e32 v0, 3, v8
	v_add_u32_e32 v15, 0x2d9, v8
	v_sub_u32_e32 v9, v45, v0
	v_lshlrev_b32_e32 v13, 3, v11
	v_pack_b32_f16 v1, v34, v28
	v_pack_b32_f16 v0, v32, v29
	s_waitcnt lgkmcnt(0)
	s_barrier
	ds_read_u16 v26, v9
	ds_read_u16 v30, v9 offset:486
	v_sub_u32_e32 v16, v10, v13
	v_lshl_add_u32 v14, v15, 1, 0
	ds_read_u16 v33, v9 offset:4860
	ds_read_u16 v36, v9 offset:5346
	;; [unrolled: 1-line block ×10, first 2 shown]
	ds_read_u16 v47, v16
	ds_read_u16 v48, v14
	ds_read_u16 v49, v9 offset:6804
	s_waitcnt lgkmcnt(0)
	s_barrier
	ds_write_b64 v45, v[0:1]
	ds_write_b16 v45, v31 offset:8
	v_pack_b32_f16 v1, v24, v18
	v_pack_b32_f16 v0, v35, v20
	ds_write_b64 v45, v[0:1] offset:2430
	ds_write_b16 v45, v22 offset:2438
	v_pack_b32_f16 v1, v17, v12
	v_pack_b32_f16 v0, v25, v44
	s_movk_i32 s0, 0xcd
	ds_write_b64 v10, v[0:1]
	ds_write_b16 v10, v27 offset:8
	v_mul_lo_u16_sdwa v0, v8, s0 dst_sel:DWORD dst_unused:UNUSED_PAD src0_sel:BYTE_0 src1_sel:DWORD
	v_lshrrev_b16_e32 v24, 10, v0
	v_mul_lo_u16_e32 v0, 5, v24
	v_sub_u16_e32 v25, v8, v0
	v_mov_b32_e32 v0, 3
	v_lshlrev_b32_sdwa v1, v0, v25 dst_sel:DWORD dst_unused:UNUSED_PAD src0_sel:DWORD src1_sel:BYTE_0
	s_waitcnt lgkmcnt(0)
	s_barrier
	global_load_dwordx2 v[6:7], v1, s[8:9]
	v_add_u32_e32 v12, 0xf3, v8
	s_mov_b32 s0, 0xcccd
	v_mul_u32_u24_sdwa v1, v12, s0 dst_sel:DWORD dst_unused:UNUSED_PAD src0_sel:WORD_0 src1_sel:DWORD
	v_lshrrev_b32_e32 v27, 18, v1
	v_mul_lo_u16_e32 v1, 5, v27
	v_sub_u16_e32 v28, v12, v1
	v_lshlrev_b32_e32 v1, 3, v28
	global_load_dwordx2 v[18:19], v1, s[8:9]
	v_add_u32_e32 v17, 0x3cc, v8
	v_mul_u32_u24_sdwa v1, v17, s0 dst_sel:DWORD dst_unused:UNUSED_PAD src0_sel:WORD_0 src1_sel:DWORD
	v_lshrrev_b32_e32 v29, 18, v1
	v_mul_lo_u16_e32 v1, 5, v29
	v_sub_u16_e32 v31, v17, v1
	v_lshlrev_b32_e32 v1, 3, v31
	global_load_dwordx2 v[20:21], v1, s[8:9]
	v_mul_u32_u24_sdwa v1, v11, s0 dst_sel:DWORD dst_unused:UNUSED_PAD src0_sel:WORD_0 src1_sel:DWORD
	v_lshrrev_b32_e32 v32, 18, v1
	v_mul_lo_u16_e32 v1, 5, v32
	v_sub_u16_e32 v34, v11, v1
	v_lshlrev_b32_e32 v1, 3, v34
	global_load_dwordx2 v[22:23], v1, s[8:9]
	ds_read_u16 v1, v9
	ds_read_u16 v35, v9 offset:486
	ds_read_u16 v44, v9 offset:4860
	;; [unrolled: 1-line block ×7, first 2 shown]
	s_mov_b32 s4, 0xbaee
	s_movk_i32 s5, 0x3aee
	v_mul_u32_u24_e32 v24, 30, v24
	v_lshlrev_b32_e32 v28, 1, v28
	v_mul_u32_u24_e32 v27, 30, v27
	v_add3_u32 v27, 0, v27, v28
	v_lshlrev_b32_e32 v28, 1, v34
	s_mov_b32 s10, 0x5040100
	v_lshlrev_b32_e32 v31, 1, v31
	s_movk_i32 s11, 0x32a
	s_waitcnt vmcnt(3) lgkmcnt(4)
	v_mul_f16_sdwa v54, v45, v6 dst_sel:DWORD dst_unused:UNUSED_PAD src0_sel:DWORD src1_sel:WORD_1
	v_fma_f16 v54, v43, v6, v54
	v_mul_f16_sdwa v43, v43, v6 dst_sel:DWORD dst_unused:UNUSED_PAD src0_sel:DWORD src1_sel:WORD_1
	v_fma_f16 v43, v45, v6, -v43
	v_mul_f16_sdwa v6, v44, v7 dst_sel:DWORD dst_unused:UNUSED_PAD src0_sel:DWORD src1_sel:WORD_1
	v_fma_f16 v45, v33, v7, v6
	v_mul_f16_sdwa v6, v33, v7 dst_sel:DWORD dst_unused:UNUSED_PAD src0_sel:DWORD src1_sel:WORD_1
	v_fma_f16 v33, v44, v7, -v6
	v_mul_u32_u24_sdwa v6, v15, s0 dst_sel:DWORD dst_unused:UNUSED_PAD src0_sel:WORD_0 src1_sel:DWORD
	v_lshrrev_b32_e32 v44, 18, v6
	v_mul_lo_u16_e32 v6, 5, v44
	v_sub_u16_e32 v55, v15, v6
	v_lshlrev_b32_e32 v6, 3, v55
	global_load_dwordx2 v[6:7], v6, s[8:9]
	s_waitcnt vmcnt(3) lgkmcnt(1)
	v_mul_f16_sdwa v56, v52, v18 dst_sel:DWORD dst_unused:UNUSED_PAD src0_sel:DWORD src1_sel:WORD_1
	v_fma_f16 v56, v39, v18, v56
	v_mul_f16_sdwa v39, v39, v18 dst_sel:DWORD dst_unused:UNUSED_PAD src0_sel:DWORD src1_sel:WORD_1
	v_fma_f16 v18, v52, v18, -v39
	v_mul_f16_sdwa v39, v50, v19 dst_sel:DWORD dst_unused:UNUSED_PAD src0_sel:DWORD src1_sel:WORD_1
	v_fma_f16 v39, v36, v19, v39
	v_mul_f16_sdwa v36, v36, v19 dst_sel:DWORD dst_unused:UNUSED_PAD src0_sel:DWORD src1_sel:WORD_1
	v_fma_f16 v19, v50, v19, -v36
	ds_read_u16 v36, v9 offset:6318
	ds_read_u16 v50, v9 offset:6804
	s_waitcnt vmcnt(2) lgkmcnt(2)
	v_mul_f16_sdwa v52, v53, v20 dst_sel:DWORD dst_unused:UNUSED_PAD src0_sel:DWORD src1_sel:WORD_1
	v_fma_f16 v52, v42, v20, v52
	v_mul_f16_sdwa v42, v42, v20 dst_sel:DWORD dst_unused:UNUSED_PAD src0_sel:DWORD src1_sel:WORD_1
	v_fma_f16 v20, v53, v20, -v42
	s_waitcnt lgkmcnt(0)
	v_mul_f16_sdwa v42, v50, v21 dst_sel:DWORD dst_unused:UNUSED_PAD src0_sel:DWORD src1_sel:WORD_1
	v_fma_f16 v42, v49, v21, v42
	v_mul_f16_sdwa v49, v49, v21 dst_sel:DWORD dst_unused:UNUSED_PAD src0_sel:DWORD src1_sel:WORD_1
	v_fma_f16 v21, v50, v21, -v49
	v_add_f16_e32 v50, v54, v45
	v_add_f16_e32 v49, v26, v54
	v_fma_f16 v26, v50, -0.5, v26
	v_sub_f16_e32 v50, v43, v33
	v_fma_f16 v53, v50, s4, v26
	v_fma_f16 v26, v50, s5, v26
	v_add_f16_e32 v50, v1, v43
	v_add_f16_e32 v50, v50, v33
	;; [unrolled: 1-line block ×3, first 2 shown]
	v_fma_f16 v1, v33, -0.5, v1
	v_sub_f16_e32 v33, v54, v45
	v_fma_f16 v43, v33, s5, v1
	v_fma_f16 v33, v33, s4, v1
	v_add_f16_e32 v1, v56, v39
	v_add_f16_e32 v49, v49, v45
	v_fma_f16 v1, v1, -0.5, v30
	v_sub_f16_e32 v45, v18, v19
	v_fma_f16 v54, v45, s4, v1
	v_fma_f16 v45, v45, s5, v1
	v_add_f16_e32 v1, v35, v18
	v_add_f16_e32 v57, v1, v19
	;; [unrolled: 1-line block ×3, first 2 shown]
	ds_read_u16 v18, v9 offset:3402
	ds_read_u16 v19, v9 offset:1944
	v_fma_f16 v1, v1, -0.5, v35
	v_add_f16_e32 v30, v30, v56
	v_sub_f16_e32 v35, v56, v39
	v_add_f16_e32 v30, v30, v39
	v_fma_f16 v39, v35, s5, v1
	v_fma_f16 v35, v35, s4, v1
	s_waitcnt vmcnt(1) lgkmcnt(1)
	v_mul_f16_sdwa v1, v18, v22 dst_sel:DWORD dst_unused:UNUSED_PAD src0_sel:DWORD src1_sel:WORD_1
	v_fma_f16 v56, v40, v22, v1
	v_mul_f16_sdwa v1, v40, v22 dst_sel:DWORD dst_unused:UNUSED_PAD src0_sel:DWORD src1_sel:WORD_1
	v_fma_f16 v18, v18, v22, -v1
	v_mul_f16_sdwa v1, v51, v23 dst_sel:DWORD dst_unused:UNUSED_PAD src0_sel:DWORD src1_sel:WORD_1
	v_fma_f16 v22, v37, v23, v1
	v_mul_f16_sdwa v1, v37, v23 dst_sel:DWORD dst_unused:UNUSED_PAD src0_sel:DWORD src1_sel:WORD_1
	v_fma_f16 v23, v51, v23, -v1
	v_add_f16_e32 v1, v52, v42
	v_fma_f16 v1, v1, -0.5, v46
	v_sub_f16_e32 v37, v20, v21
	v_fma_f16 v40, v37, s4, v1
	v_fma_f16 v37, v37, s5, v1
	s_waitcnt lgkmcnt(0)
	v_add_f16_e32 v1, v19, v20
	v_add_f16_e32 v51, v1, v21
	;; [unrolled: 1-line block ×3, first 2 shown]
	ds_read_u16 v20, v9 offset:3888
	v_add_f16_e32 v21, v46, v52
	v_fma_f16 v1, v1, -0.5, v19
	v_add_f16_e32 v21, v21, v42
	v_sub_f16_e32 v42, v52, v42
	v_fma_f16 v46, v42, s5, v1
	v_fma_f16 v42, v42, s4, v1
	v_mov_b32_e32 v1, 1
	v_lshlrev_b32_sdwa v25, v1, v25 dst_sel:DWORD dst_unused:UNUSED_PAD src0_sel:DWORD src1_sel:BYTE_0
	ds_read_u16 v19, v16
	v_add3_u32 v24, 0, v24, v25
	ds_read_u16 v25, v14
	v_lshlrev_b32_e32 v34, 1, v55
	s_waitcnt lgkmcnt(0)
	s_barrier
	s_waitcnt vmcnt(0)
	v_mul_f16_sdwa v52, v20, v6 dst_sel:DWORD dst_unused:UNUSED_PAD src0_sel:DWORD src1_sel:WORD_1
	v_fma_f16 v52, v41, v6, v52
	v_mul_f16_sdwa v41, v41, v6 dst_sel:DWORD dst_unused:UNUSED_PAD src0_sel:DWORD src1_sel:WORD_1
	v_fma_f16 v6, v20, v6, -v41
	v_mul_f16_sdwa v20, v36, v7 dst_sel:DWORD dst_unused:UNUSED_PAD src0_sel:DWORD src1_sel:WORD_1
	v_fma_f16 v20, v38, v7, v20
	v_mul_f16_sdwa v38, v38, v7 dst_sel:DWORD dst_unused:UNUSED_PAD src0_sel:DWORD src1_sel:WORD_1
	v_fma_f16 v7, v36, v7, -v38
	v_add_f16_e32 v38, v56, v22
	v_fma_f16 v38, v38, -0.5, v47
	v_sub_f16_e32 v41, v18, v23
	v_add_f16_e32 v36, v47, v56
	v_fma_f16 v47, v41, s4, v38
	v_fma_f16 v38, v41, s5, v38
	v_add_f16_e32 v41, v19, v18
	v_add_f16_e32 v18, v18, v23
	;; [unrolled: 1-line block ×3, first 2 shown]
	v_fma_f16 v18, v18, -0.5, v19
	v_sub_f16_e32 v19, v56, v22
	v_add_f16_e32 v23, v52, v20
	v_add_f16_e32 v36, v36, v22
	v_fma_f16 v22, v19, s5, v18
	v_fma_f16 v18, v19, s4, v18
	v_add_f16_e32 v19, v48, v52
	v_fma_f16 v23, v23, -0.5, v48
	v_sub_f16_e32 v48, v6, v7
	v_fma_f16 v55, v48, s4, v23
	v_fma_f16 v23, v48, s5, v23
	v_add_f16_e32 v48, v25, v6
	v_add_f16_e32 v6, v6, v7
	;; [unrolled: 1-line block ×3, first 2 shown]
	v_fma_f16 v6, v6, -0.5, v25
	v_sub_f16_e32 v7, v52, v20
	v_add_f16_e32 v19, v19, v20
	v_fma_f16 v20, v7, s5, v6
	v_fma_f16 v6, v7, s4, v6
	v_perm_b32 v7, v44, v32, s10
	v_pk_mul_lo_u16 v7, v7, 30 op_sel_hi:[1,0]
	ds_write_b16 v24, v49
	ds_write_b16 v24, v53 offset:10
	ds_write_b16 v24, v26 offset:20
	ds_write_b16 v27, v30
	ds_write_b16 v27, v54 offset:10
	ds_write_b16 v27, v45 offset:20
	v_and_b32_e32 v25, 0xfffe, v7
	v_lshrrev_b32_e32 v7, 16, v7
	v_add3_u32 v25, 0, v25, v28
	v_add3_u32 v7, 0, v7, v34
	ds_write_b16 v25, v36
	ds_write_b16 v25, v47 offset:10
	ds_write_b16 v25, v38 offset:20
	ds_write_b16 v7, v19
	ds_write_b16 v7, v55 offset:10
	ds_write_b16 v7, v23 offset:20
	v_mul_u32_u24_e32 v19, 30, v29
	v_add3_u32 v19, 0, v19, v31
	s_movk_i32 s0, 0x89
	ds_write_b16 v19, v21
	ds_write_b16 v19, v40 offset:10
	ds_write_b16 v19, v37 offset:20
	s_waitcnt lgkmcnt(0)
	s_barrier
	ds_read_u16 v26, v9
	ds_read_u16 v28, v9 offset:486
	ds_read_u16 v29, v9 offset:4860
	;; [unrolled: 1-line block ×11, first 2 shown]
	ds_read_u16 v45, v16
	ds_read_u16 v47, v14
	ds_read_u16 v49, v9 offset:6804
	s_waitcnt lgkmcnt(0)
	s_barrier
	ds_write_b16 v24, v50
	ds_write_b16 v24, v43 offset:10
	ds_write_b16 v24, v33 offset:20
	ds_write_b16 v27, v57
	ds_write_b16 v27, v39 offset:10
	ds_write_b16 v27, v35 offset:20
	;; [unrolled: 3-line block ×5, first 2 shown]
	v_mul_lo_u16_sdwa v6, v8, s0 dst_sel:DWORD dst_unused:UNUSED_PAD src0_sel:BYTE_0 src1_sel:DWORD
	v_lshrrev_b16_e32 v27, 11, v6
	v_mul_lo_u16_e32 v6, 15, v27
	v_sub_u16_e32 v33, v8, v6
	v_lshlrev_b32_sdwa v6, v0, v33 dst_sel:DWORD dst_unused:UNUSED_PAD src0_sel:DWORD src1_sel:BYTE_0
	s_mov_b32 s0, 0x8889
	s_waitcnt lgkmcnt(0)
	s_barrier
	global_load_dwordx2 v[6:7], v6, s[8:9] offset:40
	v_mul_u32_u24_sdwa v18, v12, s0 dst_sel:DWORD dst_unused:UNUSED_PAD src0_sel:WORD_0 src1_sel:DWORD
	v_lshrrev_b32_e32 v35, 19, v18
	v_mul_lo_u16_e32 v18, 15, v35
	v_sub_u16_e32 v39, v12, v18
	v_lshlrev_b32_e32 v18, 3, v39
	global_load_dwordx2 v[18:19], v18, s[8:9] offset:40
	v_mul_u32_u24_sdwa v20, v11, s0 dst_sel:DWORD dst_unused:UNUSED_PAD src0_sel:WORD_0 src1_sel:DWORD
	v_lshrrev_b32_e32 v41, 19, v20
	v_mul_lo_u16_e32 v20, 15, v41
	v_sub_u16_e32 v42, v11, v20
	v_lshlrev_b32_e32 v20, 3, v42
	global_load_dwordx2 v[20:21], v20, s[8:9] offset:40
	v_mul_u32_u24_sdwa v22, v15, s0 dst_sel:DWORD dst_unused:UNUSED_PAD src0_sel:WORD_0 src1_sel:DWORD
	v_lshrrev_b32_e32 v43, 19, v22
	v_mul_lo_u16_e32 v22, 15, v43
	v_mul_u32_u24_sdwa v24, v17, s0 dst_sel:DWORD dst_unused:UNUSED_PAD src0_sel:WORD_0 src1_sel:DWORD
	v_sub_u16_e32 v46, v15, v22
	v_lshrrev_b32_e32 v48, 19, v24
	v_lshlrev_b32_e32 v22, 3, v46
	global_load_dwordx2 v[22:23], v22, s[8:9] offset:40
	v_mul_lo_u16_e32 v24, 15, v48
	v_sub_u16_e32 v50, v17, v24
	v_lshlrev_b32_e32 v24, 3, v50
	global_load_dwordx2 v[24:25], v24, s[8:9] offset:40
	ds_read_u16 v51, v9 offset:2430
	ds_read_u16 v52, v9 offset:4860
	ds_read_u16 v53, v9 offset:5346
	ds_read_u16 v54, v9 offset:5832
	ds_read_u16 v55, v9 offset:2916
	v_mul_u32_u24_e32 v27, 0x5a, v27
	s_movk_i32 s0, 0x5a
	s_waitcnt vmcnt(4) lgkmcnt(4)
	v_mul_f16_sdwa v56, v51, v6 dst_sel:DWORD dst_unused:UNUSED_PAD src0_sel:DWORD src1_sel:WORD_1
	v_fma_f16 v56, v40, v6, v56
	v_mul_f16_sdwa v40, v40, v6 dst_sel:DWORD dst_unused:UNUSED_PAD src0_sel:DWORD src1_sel:WORD_1
	v_fma_f16 v6, v51, v6, -v40
	s_waitcnt lgkmcnt(3)
	v_mul_f16_sdwa v40, v52, v7 dst_sel:DWORD dst_unused:UNUSED_PAD src0_sel:DWORD src1_sel:WORD_1
	v_fma_f16 v40, v29, v7, v40
	v_mul_f16_sdwa v29, v29, v7 dst_sel:DWORD dst_unused:UNUSED_PAD src0_sel:DWORD src1_sel:WORD_1
	v_fma_f16 v7, v52, v7, -v29
	ds_read_u16 v29, v9 offset:6318
	ds_read_u16 v51, v9 offset:3402
	s_waitcnt vmcnt(3) lgkmcnt(2)
	v_mul_f16_sdwa v52, v55, v18 dst_sel:DWORD dst_unused:UNUSED_PAD src0_sel:DWORD src1_sel:WORD_1
	v_fma_f16 v52, v34, v18, v52
	v_mul_f16_sdwa v34, v34, v18 dst_sel:DWORD dst_unused:UNUSED_PAD src0_sel:DWORD src1_sel:WORD_1
	v_fma_f16 v18, v55, v18, -v34
	v_mul_f16_sdwa v34, v53, v19 dst_sel:DWORD dst_unused:UNUSED_PAD src0_sel:DWORD src1_sel:WORD_1
	v_fma_f16 v34, v30, v19, v34
	v_mul_f16_sdwa v30, v30, v19 dst_sel:DWORD dst_unused:UNUSED_PAD src0_sel:DWORD src1_sel:WORD_1
	v_fma_f16 v19, v53, v19, -v30
	ds_read_u16 v30, v9 offset:3888
	ds_read_u16 v53, v9 offset:4374
	s_waitcnt vmcnt(2) lgkmcnt(2)
	v_mul_f16_sdwa v55, v51, v20 dst_sel:DWORD dst_unused:UNUSED_PAD src0_sel:DWORD src1_sel:WORD_1
	v_fma_f16 v55, v36, v20, v55
	v_mul_f16_sdwa v36, v36, v20 dst_sel:DWORD dst_unused:UNUSED_PAD src0_sel:DWORD src1_sel:WORD_1
	v_fma_f16 v20, v51, v20, -v36
	v_mul_f16_sdwa v36, v54, v21 dst_sel:DWORD dst_unused:UNUSED_PAD src0_sel:DWORD src1_sel:WORD_1
	v_fma_f16 v36, v31, v21, v36
	v_mul_f16_sdwa v31, v31, v21 dst_sel:DWORD dst_unused:UNUSED_PAD src0_sel:DWORD src1_sel:WORD_1
	v_fma_f16 v21, v54, v21, -v31
	ds_read_u16 v31, v9 offset:6804
	ds_read_u16 v51, v9
	s_waitcnt vmcnt(1) lgkmcnt(3)
	v_mul_f16_sdwa v54, v30, v22 dst_sel:DWORD dst_unused:UNUSED_PAD src0_sel:DWORD src1_sel:WORD_1
	v_fma_f16 v54, v37, v22, v54
	v_mul_f16_sdwa v37, v37, v22 dst_sel:DWORD dst_unused:UNUSED_PAD src0_sel:DWORD src1_sel:WORD_1
	v_fma_f16 v22, v30, v22, -v37
	s_waitcnt vmcnt(0) lgkmcnt(2)
	v_mul_f16_sdwa v37, v53, v24 dst_sel:DWORD dst_unused:UNUSED_PAD src0_sel:DWORD src1_sel:WORD_1
	v_fma_f16 v37, v38, v24, v37
	v_mul_f16_sdwa v38, v38, v24 dst_sel:DWORD dst_unused:UNUSED_PAD src0_sel:DWORD src1_sel:WORD_1
	v_fma_f16 v24, v53, v24, -v38
	s_waitcnt lgkmcnt(1)
	v_mul_f16_sdwa v38, v31, v25 dst_sel:DWORD dst_unused:UNUSED_PAD src0_sel:DWORD src1_sel:WORD_1
	v_mul_f16_sdwa v30, v29, v23 dst_sel:DWORD dst_unused:UNUSED_PAD src0_sel:DWORD src1_sel:WORD_1
	v_fma_f16 v38, v49, v25, v38
	v_mul_f16_sdwa v49, v49, v25 dst_sel:DWORD dst_unused:UNUSED_PAD src0_sel:DWORD src1_sel:WORD_1
	v_fma_f16 v30, v32, v23, v30
	v_mul_f16_sdwa v32, v32, v23 dst_sel:DWORD dst_unused:UNUSED_PAD src0_sel:DWORD src1_sel:WORD_1
	v_fma_f16 v25, v31, v25, -v49
	v_add_f16_e32 v49, v56, v40
	v_fma_f16 v23, v29, v23, -v32
	ds_read_u16 v29, v9 offset:486
	ds_read_u16 v32, v16
	v_add_f16_e32 v31, v26, v56
	v_fma_f16 v26, v49, -0.5, v26
	v_sub_f16_e32 v49, v6, v7
	v_fma_f16 v53, v49, s4, v26
	v_fma_f16 v26, v49, s5, v26
	s_waitcnt lgkmcnt(2)
	v_add_f16_e32 v49, v51, v6
	v_add_f16_e32 v6, v6, v7
	;; [unrolled: 1-line block ×3, first 2 shown]
	v_fma_f16 v6, v6, -0.5, v51
	v_sub_f16_e32 v7, v56, v40
	v_add_f16_e32 v51, v52, v34
	v_add_f16_e32 v31, v31, v40
	v_fma_f16 v40, v7, s5, v6
	v_fma_f16 v6, v7, s4, v6
	v_add_f16_e32 v7, v28, v52
	v_fma_f16 v28, v51, -0.5, v28
	v_sub_f16_e32 v51, v18, v19
	v_fma_f16 v56, v51, s4, v28
	v_fma_f16 v28, v51, s5, v28
	s_waitcnt lgkmcnt(1)
	v_add_f16_e32 v51, v29, v18
	v_add_f16_e32 v18, v18, v19
	;; [unrolled: 1-line block ×4, first 2 shown]
	v_fma_f16 v18, v18, -0.5, v29
	v_sub_f16_e32 v19, v52, v34
	v_add_f16_e32 v34, v55, v36
	v_fma_f16 v29, v19, s5, v18
	v_fma_f16 v18, v19, s4, v18
	v_add_f16_e32 v19, v45, v55
	v_fma_f16 v34, v34, -0.5, v45
	v_sub_f16_e32 v45, v20, v21
	v_fma_f16 v52, v45, s4, v34
	v_fma_f16 v34, v45, s5, v34
	s_waitcnt lgkmcnt(0)
	v_add_f16_e32 v45, v32, v20
	v_add_f16_e32 v20, v20, v21
	;; [unrolled: 1-line block ×3, first 2 shown]
	v_fma_f16 v20, v20, -0.5, v32
	v_sub_f16_e32 v21, v55, v36
	v_fma_f16 v32, v21, s5, v20
	v_fma_f16 v20, v21, s4, v20
	v_add_f16_e32 v21, v54, v30
	v_add_f16_e32 v19, v19, v36
	v_fma_f16 v21, v21, -0.5, v47
	v_sub_f16_e32 v36, v22, v23
	v_fma_f16 v55, v36, s4, v21
	v_fma_f16 v21, v36, s5, v21
	ds_read_u16 v36, v14
	s_waitcnt lgkmcnt(0)
	v_add_f16_e32 v57, v36, v22
	v_add_f16_e32 v57, v57, v23
	;; [unrolled: 1-line block ×5, first 2 shown]
	v_fma_f16 v22, v22, -0.5, v36
	v_sub_f16_e32 v30, v54, v30
	v_fma_f16 v36, v30, s5, v22
	v_fma_f16 v22, v30, s4, v22
	v_add_f16_e32 v30, v37, v38
	v_fma_f16 v30, v30, -0.5, v44
	v_sub_f16_e32 v47, v24, v25
	v_fma_f16 v54, v47, s4, v30
	v_fma_f16 v30, v47, s5, v30
	ds_read_u16 v47, v9 offset:1944
	s_waitcnt lgkmcnt(0)
	s_barrier
	v_add_f16_e32 v44, v44, v37
	v_add_f16_e32 v58, v47, v24
	;; [unrolled: 1-line block ×4, first 2 shown]
	v_lshlrev_b32_sdwa v25, v1, v33 dst_sel:DWORD dst_unused:UNUSED_PAD src0_sel:DWORD src1_sel:BYTE_0
	v_add3_u32 v25, 0, v27, v25
	ds_write_b16 v25, v31
	ds_write_b16 v25, v53 offset:30
	ds_write_b16 v25, v26 offset:60
	v_perm_b32 v26, v41, v35, s10
	v_pk_mul_lo_u16 v26, v26, s0 op_sel_hi:[1,0]
	v_lshlrev_b32_e32 v33, 1, v39
	v_and_b32_e32 v27, 0xfffe, v26
	v_add3_u32 v27, 0, v27, v33
	v_lshlrev_b32_e32 v39, 1, v42
	ds_write_b16 v27, v7
	ds_write_b16 v27, v56 offset:30
	ds_write_b16 v27, v28 offset:60
	v_lshrrev_b32_e32 v7, 16, v26
	v_add3_u32 v7, 0, v7, v39
	v_lshlrev_b32_e32 v42, 1, v46
	ds_write_b16 v7, v19
	ds_write_b16 v7, v52 offset:30
	ds_write_b16 v7, v34 offset:60
	v_mul_u32_u24_e32 v19, 0x5a, v43
	v_add3_u32 v19, 0, v19, v42
	v_lshlrev_b32_e32 v46, 1, v50
	ds_write_b16 v19, v23
	ds_write_b16 v19, v55 offset:30
	ds_write_b16 v19, v21 offset:60
	v_mul_u32_u24_e32 v21, 0x5a, v48
	v_fma_f16 v24, v24, -0.5, v47
	v_add_f16_e32 v44, v44, v38
	v_sub_f16_e32 v37, v37, v38
	v_add3_u32 v21, 0, v21, v46
	s_movk_i32 s0, 0x6d
	v_fma_f16 v38, v37, s5, v24
	v_fma_f16 v24, v37, s4, v24
	ds_write_b16 v21, v44
	ds_write_b16 v21, v54 offset:30
	ds_write_b16 v21, v30 offset:60
	s_waitcnt lgkmcnt(0)
	s_barrier
	ds_read_u16 v26, v9
	ds_read_u16 v28, v9 offset:486
	ds_read_u16 v30, v9 offset:4860
	;; [unrolled: 1-line block ×11, first 2 shown]
	ds_read_u16 v44, v16
	ds_read_u16 v46, v14
	ds_read_u16 v47, v9 offset:6804
	s_waitcnt lgkmcnt(0)
	s_barrier
	ds_write_b16 v25, v49
	ds_write_b16 v25, v40 offset:30
	ds_write_b16 v25, v6 offset:60
	ds_write_b16 v27, v51
	ds_write_b16 v27, v29 offset:30
	ds_write_b16 v27, v18 offset:60
	;; [unrolled: 3-line block ×5, first 2 shown]
	v_mul_lo_u16_sdwa v6, v8, s0 dst_sel:DWORD dst_unused:UNUSED_PAD src0_sel:BYTE_0 src1_sel:DWORD
	v_sub_u16_sdwa v7, v8, v6 dst_sel:DWORD dst_unused:UNUSED_PAD src0_sel:DWORD src1_sel:BYTE_1
	v_lshrrev_b16_e32 v7, 1, v7
	v_and_b32_e32 v7, 0x7f, v7
	s_movk_i32 s0, 0x2d83
	v_add_u16_sdwa v6, v7, v6 dst_sel:DWORD dst_unused:UNUSED_PAD src0_sel:DWORD src1_sel:BYTE_1
	v_mul_u32_u24_sdwa v20, v11, s0 dst_sel:DWORD dst_unused:UNUSED_PAD src0_sel:WORD_0 src1_sel:DWORD
	v_mul_u32_u24_sdwa v24, v17, s0 dst_sel:DWORD dst_unused:UNUSED_PAD src0_sel:WORD_0 src1_sel:DWORD
	v_lshrrev_b16_e32 v27, 5, v6
	v_lshrrev_b32_e32 v36, 19, v20
	v_lshrrev_b32_e32 v48, 19, v24
	v_mul_lo_u16_e32 v6, 45, v27
	v_mul_lo_u16_e32 v20, 45, v36
	;; [unrolled: 1-line block ×3, first 2 shown]
	v_sub_u16_e32 v29, v8, v6
	v_sub_u16_e32 v38, v11, v20
	;; [unrolled: 1-line block ×3, first 2 shown]
	v_lshlrev_b32_sdwa v0, v0, v29 dst_sel:DWORD dst_unused:UNUSED_PAD src0_sel:DWORD src1_sel:BYTE_0
	v_lshlrev_b32_e32 v20, 3, v38
	v_lshlrev_b32_e32 v24, 3, v49
	s_waitcnt lgkmcnt(0)
	s_barrier
	global_load_dwordx2 v[6:7], v0, s[8:9] offset:160
	v_mul_u32_u24_sdwa v22, v15, s0 dst_sel:DWORD dst_unused:UNUSED_PAD src0_sel:WORD_0 src1_sel:DWORD
	global_load_dwordx2 v[20:21], v20, s[8:9] offset:160
	v_lshrrev_b32_e32 v40, 19, v22
	global_load_dwordx2 v[24:25], v24, s[8:9] offset:160
	v_mul_u32_u24_sdwa v0, v12, s0 dst_sel:DWORD dst_unused:UNUSED_PAD src0_sel:WORD_0 src1_sel:DWORD
	v_lshrrev_b32_e32 v0, 19, v0
	v_mul_lo_u16_e32 v18, 45, v0
	v_sub_u16_e32 v32, v12, v18
	v_lshlrev_b32_e32 v18, 3, v32
	global_load_dwordx2 v[18:19], v18, s[8:9] offset:160
	v_mul_lo_u16_e32 v22, 45, v40
	v_sub_u16_e32 v45, v15, v22
	v_lshlrev_b32_e32 v22, 3, v45
	global_load_dwordx2 v[22:23], v22, s[8:9] offset:160
	ds_read_u16 v50, v9
	ds_read_u16 v51, v9 offset:2430
	ds_read_u16 v52, v9 offset:486
	;; [unrolled: 1-line block ×5, first 2 shown]
	v_lshlrev_b32_sdwa v1, v1, v29 dst_sel:DWORD dst_unused:UNUSED_PAD src0_sel:DWORD src1_sel:BYTE_0
	v_lshlrev_b32_e32 v29, 1, v32
	v_lshlrev_b32_e32 v32, 1, v38
	;; [unrolled: 1-line block ×4, first 2 shown]
	v_mul_u32_u24_e32 v0, 0x10e, v0
	v_add3_u32 v0, 0, v0, v29
	s_movk_i32 s0, 0x10e
	s_waitcnt vmcnt(4) lgkmcnt(4)
	v_mul_f16_sdwa v56, v51, v6 dst_sel:DWORD dst_unused:UNUSED_PAD src0_sel:DWORD src1_sel:WORD_1
	v_fma_f16 v56, v42, v6, v56
	v_mul_f16_sdwa v42, v42, v6 dst_sel:DWORD dst_unused:UNUSED_PAD src0_sel:DWORD src1_sel:WORD_1
	v_fma_f16 v6, v51, v6, -v42
	s_waitcnt lgkmcnt(2)
	v_mul_f16_sdwa v42, v53, v7 dst_sel:DWORD dst_unused:UNUSED_PAD src0_sel:DWORD src1_sel:WORD_1
	v_fma_f16 v42, v30, v7, v42
	v_mul_f16_sdwa v30, v30, v7 dst_sel:DWORD dst_unused:UNUSED_PAD src0_sel:DWORD src1_sel:WORD_1
	v_fma_f16 v7, v53, v7, -v30
	ds_read_u16 v30, v9 offset:5832
	ds_read_u16 v51, v9 offset:3402
	s_waitcnt vmcnt(1) lgkmcnt(2)
	v_mul_f16_sdwa v53, v55, v18 dst_sel:DWORD dst_unused:UNUSED_PAD src0_sel:DWORD src1_sel:WORD_1
	v_fma_f16 v53, v35, v18, v53
	v_mul_f16_sdwa v35, v35, v18 dst_sel:DWORD dst_unused:UNUSED_PAD src0_sel:DWORD src1_sel:WORD_1
	v_fma_f16 v18, v55, v18, -v35
	v_mul_f16_sdwa v35, v54, v19 dst_sel:DWORD dst_unused:UNUSED_PAD src0_sel:DWORD src1_sel:WORD_1
	v_fma_f16 v35, v31, v19, v35
	v_mul_f16_sdwa v31, v31, v19 dst_sel:DWORD dst_unused:UNUSED_PAD src0_sel:DWORD src1_sel:WORD_1
	v_fma_f16 v19, v54, v19, -v31
	ds_read_u16 v31, v9 offset:6318
	ds_read_u16 v54, v9 offset:3888
	s_waitcnt lgkmcnt(2)
	v_mul_f16_sdwa v55, v51, v20 dst_sel:DWORD dst_unused:UNUSED_PAD src0_sel:DWORD src1_sel:WORD_1
	v_fma_f16 v55, v37, v20, v55
	v_mul_f16_sdwa v37, v37, v20 dst_sel:DWORD dst_unused:UNUSED_PAD src0_sel:DWORD src1_sel:WORD_1
	v_fma_f16 v20, v51, v20, -v37
	v_mul_f16_sdwa v37, v30, v21 dst_sel:DWORD dst_unused:UNUSED_PAD src0_sel:DWORD src1_sel:WORD_1
	v_fma_f16 v37, v33, v21, v37
	v_mul_f16_sdwa v33, v33, v21 dst_sel:DWORD dst_unused:UNUSED_PAD src0_sel:DWORD src1_sel:WORD_1
	s_waitcnt vmcnt(0) lgkmcnt(0)
	v_mul_f16_sdwa v51, v54, v22 dst_sel:DWORD dst_unused:UNUSED_PAD src0_sel:DWORD src1_sel:WORD_1
	v_fma_f16 v21, v30, v21, -v33
	ds_read_u16 v30, v9 offset:4374
	ds_read_u16 v33, v9 offset:1944
	v_fma_f16 v51, v39, v22, v51
	v_mul_f16_sdwa v39, v39, v22 dst_sel:DWORD dst_unused:UNUSED_PAD src0_sel:DWORD src1_sel:WORD_1
	v_fma_f16 v22, v54, v22, -v39
	v_mul_f16_sdwa v39, v31, v23 dst_sel:DWORD dst_unused:UNUSED_PAD src0_sel:DWORD src1_sel:WORD_1
	v_fma_f16 v39, v34, v23, v39
	v_mul_f16_sdwa v34, v34, v23 dst_sel:DWORD dst_unused:UNUSED_PAD src0_sel:DWORD src1_sel:WORD_1
	v_fma_f16 v23, v31, v23, -v34
	ds_read_u16 v31, v9 offset:6804
	ds_read_u16 v34, v16
	ds_read_u16 v54, v14
	s_waitcnt lgkmcnt(4)
	v_mul_f16_sdwa v49, v30, v24 dst_sel:DWORD dst_unused:UNUSED_PAD src0_sel:DWORD src1_sel:WORD_1
	v_fma_f16 v49, v41, v24, v49
	v_mul_f16_sdwa v41, v41, v24 dst_sel:DWORD dst_unused:UNUSED_PAD src0_sel:DWORD src1_sel:WORD_1
	v_fma_f16 v24, v30, v24, -v41
	s_waitcnt lgkmcnt(2)
	v_mul_f16_sdwa v30, v31, v25 dst_sel:DWORD dst_unused:UNUSED_PAD src0_sel:DWORD src1_sel:WORD_1
	v_mul_f16_sdwa v41, v47, v25 dst_sel:DWORD dst_unused:UNUSED_PAD src0_sel:DWORD src1_sel:WORD_1
	v_fma_f16 v30, v47, v25, v30
	v_fma_f16 v25, v31, v25, -v41
	v_add_f16_e32 v41, v56, v42
	v_add_f16_e32 v31, v26, v56
	v_fma_f16 v26, v41, -0.5, v26
	v_sub_f16_e32 v41, v6, v7
	v_fma_f16 v47, v41, s4, v26
	v_fma_f16 v26, v41, s5, v26
	v_add_f16_e32 v41, v50, v6
	v_add_f16_e32 v6, v6, v7
	;; [unrolled: 1-line block ×3, first 2 shown]
	v_fma_f16 v6, v6, -0.5, v50
	v_sub_f16_e32 v7, v56, v42
	v_add_f16_e32 v50, v53, v35
	v_add_f16_e32 v31, v31, v42
	v_fma_f16 v42, v7, s5, v6
	v_fma_f16 v6, v7, s4, v6
	v_add_f16_e32 v7, v28, v53
	v_fma_f16 v28, v50, -0.5, v28
	v_sub_f16_e32 v50, v18, v19
	v_fma_f16 v56, v50, s4, v28
	v_fma_f16 v28, v50, s5, v28
	v_add_f16_e32 v50, v52, v18
	v_add_f16_e32 v18, v18, v19
	;; [unrolled: 1-line block ×3, first 2 shown]
	v_fma_f16 v18, v18, -0.5, v52
	v_sub_f16_e32 v19, v53, v35
	v_add_f16_e32 v52, v55, v37
	v_add_f16_e32 v7, v7, v35
	v_fma_f16 v35, v19, s5, v18
	v_fma_f16 v18, v19, s4, v18
	v_add_f16_e32 v19, v44, v55
	v_fma_f16 v44, v52, -0.5, v44
	v_sub_f16_e32 v52, v20, v21
	v_fma_f16 v53, v52, s4, v44
	v_fma_f16 v44, v52, s5, v44
	s_waitcnt lgkmcnt(1)
	v_add_f16_e32 v52, v34, v20
	v_add_f16_e32 v20, v20, v21
	;; [unrolled: 1-line block ×4, first 2 shown]
	v_fma_f16 v20, v20, -0.5, v34
	v_sub_f16_e32 v21, v55, v37
	v_add_f16_e32 v37, v51, v39
	v_fma_f16 v34, v21, s5, v20
	v_fma_f16 v20, v21, s4, v20
	v_add_f16_e32 v21, v46, v51
	v_fma_f16 v37, v37, -0.5, v46
	v_sub_f16_e32 v46, v22, v23
	v_fma_f16 v55, v46, s4, v37
	v_fma_f16 v37, v46, s5, v37
	s_waitcnt lgkmcnt(0)
	v_add_f16_e32 v46, v54, v22
	v_add_f16_e32 v22, v22, v23
	;; [unrolled: 1-line block ×3, first 2 shown]
	v_fma_f16 v22, v22, -0.5, v54
	v_sub_f16_e32 v23, v51, v39
	v_add_f16_e32 v51, v49, v30
	v_add_f16_e32 v21, v21, v39
	v_fma_f16 v39, v23, s5, v22
	v_fma_f16 v22, v23, s4, v22
	v_add_f16_e32 v23, v43, v49
	v_fma_f16 v43, v51, -0.5, v43
	v_sub_f16_e32 v51, v24, v25
	v_fma_f16 v54, v51, s4, v43
	v_fma_f16 v43, v51, s5, v43
	v_add_f16_e32 v51, v33, v24
	v_add_f16_e32 v24, v24, v25
	;; [unrolled: 1-line block ×3, first 2 shown]
	v_fma_f16 v24, v24, -0.5, v33
	v_sub_f16_e32 v25, v49, v30
	v_add_f16_e32 v23, v23, v30
	v_fma_f16 v30, v25, s5, v24
	v_fma_f16 v24, v25, s4, v24
	v_mul_u32_u24_e32 v25, 0x10e, v27
	v_add3_u32 v1, 0, v25, v1
	s_barrier
	ds_write_b16 v1, v31
	ds_write_b16 v1, v47 offset:90
	ds_write_b16 v1, v26 offset:180
	ds_write_b16 v0, v7
	ds_write_b16 v0, v56 offset:90
	ds_write_b16 v0, v28 offset:180
	v_perm_b32 v7, v40, v36, s10
	v_pk_mul_lo_u16 v7, v7, s0 op_sel_hi:[1,0]
	s_movk_i32 s0, 0x87
	v_and_b32_e32 v25, 0xfffe, v7
	v_add3_u32 v25, 0, v25, v32
	ds_write_b16 v25, v19
	ds_write_b16 v25, v53 offset:90
	ds_write_b16 v25, v44 offset:180
	v_lshrrev_b32_e32 v7, 16, v7
	v_mul_u32_u24_e32 v19, 0x10e, v48
	v_add3_u32 v7, 0, v7, v38
	v_add3_u32 v19, 0, v19, v45
	ds_write_b16 v7, v21
	ds_write_b16 v7, v55 offset:90
	ds_write_b16 v7, v37 offset:180
	ds_write_b16 v19, v23
	ds_write_b16 v19, v54 offset:90
	ds_write_b16 v19, v43 offset:180
	s_waitcnt lgkmcnt(0)
	s_barrier
	ds_read_u16 v26, v9
	ds_read_u16 v27, v9 offset:486
	ds_read_u16 v28, v9 offset:4860
	;; [unrolled: 1-line block ×11, first 2 shown]
	ds_read_u16 v44, v16
	ds_read_u16 v45, v14
	ds_read_u16 v47, v9 offset:6804
	s_waitcnt lgkmcnt(0)
	s_barrier
	ds_write_b16 v1, v41
	ds_write_b16 v1, v42 offset:90
	ds_write_b16 v1, v6 offset:180
	ds_write_b16 v0, v50
	ds_write_b16 v0, v35 offset:90
	ds_write_b16 v0, v18 offset:180
	;; [unrolled: 3-line block ×5, first 2 shown]
	v_add_u32_e32 v0, 0xffffff79, v8
	v_cmp_gt_u32_e64 s[0:1], s0, v8
	v_mov_b32_e32 v1, 0
	s_waitcnt lgkmcnt(0)
	v_cndmask_b32_e64 v0, v0, v8, s[0:1]
	v_lshlrev_b32_e32 v0, 1, v0
	v_lshl_add_u64 v[6:7], v[0:1], 2, s[8:9]
	s_barrier
	global_load_dwordx2 v[6:7], v[6:7], off offset:520
	s_movk_i32 s0, 0x795d
	v_mul_u32_u24_sdwa v18, v12, s0 dst_sel:DWORD dst_unused:UNUSED_PAD src0_sel:WORD_0 src1_sel:DWORD
	v_lshrrev_b32_e32 v30, 22, v18
	v_mul_lo_u16_e32 v18, 0x87, v30
	v_sub_u16_e32 v34, v12, v18
	v_mul_u32_u24_sdwa v20, v11, s0 dst_sel:DWORD dst_unused:UNUSED_PAD src0_sel:WORD_0 src1_sel:DWORD
	v_lshlrev_b32_e32 v18, 3, v34
	v_lshrrev_b32_e32 v35, 22, v20
	global_load_dwordx2 v[18:19], v18, s[8:9] offset:520
	v_mul_lo_u16_e32 v20, 0x87, v35
	v_sub_u16_e32 v39, v11, v20
	v_lshlrev_b32_e32 v20, 3, v39
	global_load_dwordx2 v[20:21], v20, s[8:9] offset:520
	v_mul_u32_u24_sdwa v22, v15, s0 dst_sel:DWORD dst_unused:UNUSED_PAD src0_sel:WORD_0 src1_sel:DWORD
	v_lshrrev_b32_e32 v41, 22, v22
	v_mul_lo_u16_e32 v22, 0x87, v41
	v_mul_u32_u24_sdwa v24, v17, s0 dst_sel:DWORD dst_unused:UNUSED_PAD src0_sel:WORD_0 src1_sel:DWORD
	v_sub_u16_e32 v42, v15, v22
	v_lshrrev_b32_e32 v46, 22, v24
	v_lshlrev_b32_e32 v22, 3, v42
	global_load_dwordx2 v[22:23], v22, s[8:9] offset:520
	v_mul_lo_u16_e32 v24, 0x87, v46
	v_sub_u16_e32 v48, v17, v24
	v_lshlrev_b32_e32 v24, 3, v48
	global_load_dwordx2 v[24:25], v24, s[8:9] offset:520
	ds_read_u16 v49, v9
	ds_read_u16 v50, v9 offset:486
	ds_read_u16 v51, v9 offset:2430
	;; [unrolled: 1-line block ×6, first 2 shown]
	s_movk_i32 s0, 0x86
	v_cmp_lt_u32_e64 s[0:1], s0, v8
	v_lshlrev_b32_e32 v34, 1, v34
	s_waitcnt vmcnt(4) lgkmcnt(4)
	v_mul_f16_sdwa v56, v51, v6 dst_sel:DWORD dst_unused:UNUSED_PAD src0_sel:DWORD src1_sel:WORD_1
	v_fma_f16 v56, v40, v6, v56
	v_mul_f16_sdwa v40, v40, v6 dst_sel:DWORD dst_unused:UNUSED_PAD src0_sel:DWORD src1_sel:WORD_1
	v_fma_f16 v6, v51, v6, -v40
	s_waitcnt lgkmcnt(3)
	v_mul_f16_sdwa v40, v52, v7 dst_sel:DWORD dst_unused:UNUSED_PAD src0_sel:DWORD src1_sel:WORD_1
	v_fma_f16 v40, v28, v7, v40
	v_mul_f16_sdwa v28, v28, v7 dst_sel:DWORD dst_unused:UNUSED_PAD src0_sel:DWORD src1_sel:WORD_1
	v_fma_f16 v7, v52, v7, -v28
	ds_read_u16 v28, v9 offset:6318
	ds_read_u16 v51, v9 offset:3402
	s_waitcnt vmcnt(3) lgkmcnt(2)
	v_mul_f16_sdwa v52, v55, v18 dst_sel:DWORD dst_unused:UNUSED_PAD src0_sel:DWORD src1_sel:WORD_1
	v_fma_f16 v52, v33, v18, v52
	v_mul_f16_sdwa v33, v33, v18 dst_sel:DWORD dst_unused:UNUSED_PAD src0_sel:DWORD src1_sel:WORD_1
	v_fma_f16 v18, v55, v18, -v33
	v_mul_f16_sdwa v33, v53, v19 dst_sel:DWORD dst_unused:UNUSED_PAD src0_sel:DWORD src1_sel:WORD_1
	v_fma_f16 v33, v29, v19, v33
	v_mul_f16_sdwa v29, v29, v19 dst_sel:DWORD dst_unused:UNUSED_PAD src0_sel:DWORD src1_sel:WORD_1
	s_waitcnt vmcnt(2) lgkmcnt(0)
	v_mul_f16_sdwa v55, v51, v20 dst_sel:DWORD dst_unused:UNUSED_PAD src0_sel:DWORD src1_sel:WORD_1
	v_fma_f16 v19, v53, v19, -v29
	ds_read_u16 v29, v9 offset:3888
	ds_read_u16 v53, v9 offset:4374
	v_fma_f16 v55, v36, v20, v55
	v_mul_f16_sdwa v36, v36, v20 dst_sel:DWORD dst_unused:UNUSED_PAD src0_sel:DWORD src1_sel:WORD_1
	v_fma_f16 v20, v51, v20, -v36
	v_mul_f16_sdwa v36, v54, v21 dst_sel:DWORD dst_unused:UNUSED_PAD src0_sel:DWORD src1_sel:WORD_1
	v_fma_f16 v36, v31, v21, v36
	v_mul_f16_sdwa v31, v31, v21 dst_sel:DWORD dst_unused:UNUSED_PAD src0_sel:DWORD src1_sel:WORD_1
	v_fma_f16 v21, v54, v21, -v31
	ds_read_u16 v31, v9 offset:1944
	ds_read_u16 v51, v9 offset:6804
	s_waitcnt vmcnt(1) lgkmcnt(3)
	v_mul_f16_sdwa v54, v29, v22 dst_sel:DWORD dst_unused:UNUSED_PAD src0_sel:DWORD src1_sel:WORD_1
	v_fma_f16 v54, v37, v22, v54
	v_mul_f16_sdwa v37, v37, v22 dst_sel:DWORD dst_unused:UNUSED_PAD src0_sel:DWORD src1_sel:WORD_1
	v_fma_f16 v22, v29, v22, -v37
	v_lshlrev_b32_e32 v37, 1, v39
	v_lshlrev_b32_e32 v39, 1, v42
	;; [unrolled: 1-line block ×3, first 2 shown]
	s_waitcnt vmcnt(0) lgkmcnt(2)
	v_mul_f16_sdwa v48, v53, v24 dst_sel:DWORD dst_unused:UNUSED_PAD src0_sel:DWORD src1_sel:WORD_1
	v_fma_f16 v48, v38, v24, v48
	v_mul_f16_sdwa v38, v38, v24 dst_sel:DWORD dst_unused:UNUSED_PAD src0_sel:DWORD src1_sel:WORD_1
	v_fma_f16 v24, v53, v24, -v38
	s_waitcnt lgkmcnt(0)
	v_mul_f16_sdwa v38, v51, v25 dst_sel:DWORD dst_unused:UNUSED_PAD src0_sel:DWORD src1_sel:WORD_1
	v_fma_f16 v38, v47, v25, v38
	v_mul_f16_sdwa v47, v47, v25 dst_sel:DWORD dst_unused:UNUSED_PAD src0_sel:DWORD src1_sel:WORD_1
	v_fma_f16 v25, v51, v25, -v47
	v_add_f16_e32 v51, v56, v40
	v_add_f16_e32 v47, v26, v56
	v_fma_f16 v26, v51, -0.5, v26
	v_sub_f16_e32 v51, v6, v7
	v_mul_f16_sdwa v29, v28, v23 dst_sel:DWORD dst_unused:UNUSED_PAD src0_sel:DWORD src1_sel:WORD_1
	v_fma_f16 v53, v51, s4, v26
	v_fma_f16 v26, v51, s5, v26
	v_add_f16_e32 v51, v49, v6
	v_add_f16_e32 v6, v6, v7
	v_fma_f16 v29, v32, v23, v29
	v_mul_f16_sdwa v32, v32, v23 dst_sel:DWORD dst_unused:UNUSED_PAD src0_sel:DWORD src1_sel:WORD_1
	v_add_f16_e32 v51, v51, v7
	v_fma_f16 v6, v6, -0.5, v49
	v_sub_f16_e32 v7, v56, v40
	v_add_f16_e32 v49, v52, v33
	v_fma_f16 v23, v28, v23, -v32
	ds_read_u16 v28, v16
	ds_read_u16 v32, v14
	v_add_f16_e32 v47, v47, v40
	v_fma_f16 v40, v7, s5, v6
	v_fma_f16 v6, v7, s4, v6
	v_add_f16_e32 v7, v27, v52
	v_fma_f16 v27, v49, -0.5, v27
	v_sub_f16_e32 v49, v18, v19
	v_fma_f16 v56, v49, s4, v27
	v_fma_f16 v27, v49, s5, v27
	v_add_f16_e32 v49, v50, v18
	v_add_f16_e32 v18, v18, v19
	v_add_f16_e32 v49, v49, v19
	v_fma_f16 v18, v18, -0.5, v50
	v_sub_f16_e32 v19, v52, v33
	v_add_f16_e32 v50, v55, v36
	v_add_f16_e32 v7, v7, v33
	v_fma_f16 v33, v19, s5, v18
	v_fma_f16 v18, v19, s4, v18
	v_add_f16_e32 v19, v44, v55
	v_fma_f16 v44, v50, -0.5, v44
	v_sub_f16_e32 v50, v20, v21
	v_fma_f16 v52, v50, s4, v44
	v_fma_f16 v44, v50, s5, v44
	s_waitcnt lgkmcnt(1)
	v_add_f16_e32 v50, v28, v20
	v_add_f16_e32 v20, v20, v21
	;; [unrolled: 1-line block ×4, first 2 shown]
	v_fma_f16 v20, v20, -0.5, v28
	v_sub_f16_e32 v21, v55, v36
	v_add_f16_e32 v36, v54, v29
	v_fma_f16 v28, v21, s5, v20
	v_fma_f16 v20, v21, s4, v20
	v_add_f16_e32 v21, v45, v54
	v_fma_f16 v36, v36, -0.5, v45
	v_sub_f16_e32 v45, v22, v23
	v_fma_f16 v55, v45, s4, v36
	v_fma_f16 v36, v45, s5, v36
	s_waitcnt lgkmcnt(0)
	v_add_f16_e32 v45, v32, v22
	v_add_f16_e32 v22, v22, v23
	;; [unrolled: 1-line block ×3, first 2 shown]
	v_fma_f16 v22, v22, -0.5, v32
	v_sub_f16_e32 v23, v54, v29
	v_add_f16_e32 v32, v48, v38
	v_add_f16_e32 v21, v21, v29
	v_fma_f16 v29, v23, s5, v22
	v_fma_f16 v22, v23, s4, v22
	v_add_f16_e32 v23, v43, v48
	v_fma_f16 v32, v32, -0.5, v43
	v_sub_f16_e32 v43, v24, v25
	v_fma_f16 v54, v43, s4, v32
	v_fma_f16 v32, v43, s5, v32
	v_add_f16_e32 v43, v31, v24
	v_add_f16_e32 v24, v24, v25
	v_add_f16_e32 v43, v43, v25
	v_fma_f16 v24, v24, -0.5, v31
	v_sub_f16_e32 v25, v48, v38
	v_fma_f16 v31, v25, s5, v24
	v_fma_f16 v24, v25, s4, v24
	v_mov_b32_e32 v25, 0x32a
	v_cndmask_b32_e64 v25, 0, v25, s[0:1]
	v_add3_u32 v0, 0, v25, v0
	v_perm_b32 v25, v35, v30, s10
	v_pk_mul_lo_u16 v25, v25, s11 op_sel_hi:[1,0]
	s_barrier
	ds_write_b16 v0, v47
	ds_write_b16 v0, v53 offset:270
	ds_write_b16 v0, v26 offset:540
	v_and_b32_e32 v26, 0xfffe, v25
	v_add3_u32 v26, 0, v26, v34
	ds_write_b16 v26, v7
	ds_write_b16 v26, v56 offset:270
	ds_write_b16 v26, v27 offset:540
	v_lshrrev_b32_e32 v7, 16, v25
	v_add3_u32 v7, 0, v7, v37
	ds_write_b16 v7, v19
	ds_write_b16 v7, v52 offset:270
	ds_write_b16 v7, v44 offset:540
	v_mul_u32_u24_e32 v19, 0x32a, v41
	v_add3_u32 v19, 0, v19, v39
	ds_write_b16 v19, v21
	ds_write_b16 v19, v55 offset:270
	ds_write_b16 v19, v36 offset:540
	v_mul_u32_u24_e32 v21, 0x32a, v46
	v_add_f16_e32 v23, v23, v38
	v_add3_u32 v21, 0, v21, v42
	ds_write_b16 v21, v23
	ds_write_b16 v21, v54 offset:270
	ds_write_b16 v21, v32 offset:540
	s_waitcnt lgkmcnt(0)
	s_barrier
	ds_read_u16 v30, v9
	ds_read_u16 v32, v9 offset:486
	ds_read_u16 v34, v9 offset:4860
	;; [unrolled: 1-line block ×11, first 2 shown]
	ds_read_u16 v47, v16
	ds_read_u16 v48, v14
	ds_read_u16 v52, v9 offset:6804
	s_waitcnt lgkmcnt(0)
	s_barrier
	ds_write_b16 v0, v51
	ds_write_b16 v0, v40 offset:270
	ds_write_b16 v0, v6 offset:540
	ds_write_b16 v26, v49
	ds_write_b16 v26, v33 offset:270
	ds_write_b16 v26, v18 offset:540
	;; [unrolled: 3-line block ×5, first 2 shown]
	v_lshlrev_b32_e32 v0, 1, v8
	v_lshl_add_u64 v[6:7], v[0:1], 2, s[8:9]
	s_waitcnt lgkmcnt(0)
	s_barrier
	global_load_dwordx2 v[18:19], v[6:7], off offset:1600
	s_movk_i32 s0, 0xa2
	v_add_u32_e32 v20, 0xffffff5e, v8
	v_cmp_gt_u32_e64 s[0:1], s0, v8
	v_mov_b32_e32 v21, v1
	v_add_u32_e32 v24, 0xa2, v0
	v_cndmask_b32_e64 v20, v20, v12, s[0:1]
	v_lshlrev_b32_e32 v20, 1, v20
	v_lshl_add_u64 v[22:23], v[20:21], 2, s[8:9]
	global_load_dwordx2 v[22:23], v[22:23], off offset:1600
	s_movk_i32 s0, 0x43a3
	v_mul_u32_u24_sdwa v21, v15, s0 dst_sel:DWORD dst_unused:UNUSED_PAD src0_sel:WORD_0 src1_sel:DWORD
	v_mov_b32_e32 v25, v1
	v_sub_u16_sdwa v26, v15, v21 dst_sel:DWORD dst_unused:UNUSED_PAD src0_sel:DWORD src1_sel:WORD_1
	v_lshl_add_u64 v[24:25], v[24:25], 2, s[8:9]
	v_lshrrev_b16_e32 v26, 1, v26
	global_load_dwordx2 v[24:25], v[24:25], off offset:1600
	v_add_u16_sdwa v21, v26, v21 dst_sel:DWORD dst_unused:UNUSED_PAD src0_sel:DWORD src1_sel:WORD_1
	s_movk_i32 s1, 0x195
	v_mul_lo_u16_sdwa v26, v21, s1 dst_sel:DWORD dst_unused:UNUSED_PAD src0_sel:BYTE_1 src1_sel:DWORD
	v_sub_u16_e32 v31, v15, v26
	v_lshlrev_b32_e32 v26, 3, v31
	global_load_dwordx2 v[26:27], v26, s[8:9] offset:1600
	v_mul_u32_u24_sdwa v28, v17, s0 dst_sel:DWORD dst_unused:UNUSED_PAD src0_sel:WORD_0 src1_sel:DWORD
	v_sub_u16_sdwa v29, v17, v28 dst_sel:DWORD dst_unused:UNUSED_PAD src0_sel:DWORD src1_sel:WORD_1
	v_lshrrev_b16_e32 v29, 1, v29
	v_add_u16_sdwa v28, v29, v28 dst_sel:DWORD dst_unused:UNUSED_PAD src0_sel:DWORD src1_sel:WORD_1
	v_mul_lo_u16_sdwa v28, v28, s1 dst_sel:DWORD dst_unused:UNUSED_PAD src0_sel:BYTE_1 src1_sel:DWORD
	v_sub_u16_e32 v33, v17, v28
	v_lshlrev_b32_e32 v28, 3, v33
	global_load_dwordx2 v[28:29], v28, s[8:9] offset:1600
	ds_read_u16 v40, v9
	ds_read_u16 v43, v9 offset:486
	ds_read_u16 v45, v16
	ds_read_u16 v49, v9 offset:2430
	ds_read_u16 v50, v9 offset:4860
	;; [unrolled: 1-line block ×5, first 2 shown]
	s_movk_i32 s0, 0xa1
	v_cmp_lt_u32_e64 s[0:1], s0, v8
	s_movk_i32 s10, 0x97e
	v_lshlrev_b32_e32 v31, 1, v31
	v_add_u32_e32 v0, 0, v0
	v_lshl_add_u32 v33, v33, 1, 0
	s_waitcnt vmcnt(4) lgkmcnt(4)
	v_mul_f16_sdwa v55, v49, v18 dst_sel:DWORD dst_unused:UNUSED_PAD src0_sel:DWORD src1_sel:WORD_1
	v_fma_f16 v55, v44, v18, v55
	v_mul_f16_sdwa v44, v44, v18 dst_sel:DWORD dst_unused:UNUSED_PAD src0_sel:DWORD src1_sel:WORD_1
	v_fma_f16 v18, v49, v18, -v44
	s_waitcnt lgkmcnt(3)
	v_mul_f16_sdwa v44, v50, v19 dst_sel:DWORD dst_unused:UNUSED_PAD src0_sel:DWORD src1_sel:WORD_1
	v_fma_f16 v44, v34, v19, v44
	v_mul_f16_sdwa v34, v34, v19 dst_sel:DWORD dst_unused:UNUSED_PAD src0_sel:DWORD src1_sel:WORD_1
	v_fma_f16 v19, v50, v19, -v34
	ds_read_u16 v34, v9 offset:6318
	ds_read_u16 v49, v9 offset:3402
	s_waitcnt vmcnt(3) lgkmcnt(2)
	v_mul_f16_sdwa v50, v54, v22 dst_sel:DWORD dst_unused:UNUSED_PAD src0_sel:DWORD src1_sel:WORD_1
	v_fma_f16 v50, v38, v22, v50
	v_mul_f16_sdwa v38, v38, v22 dst_sel:DWORD dst_unused:UNUSED_PAD src0_sel:DWORD src1_sel:WORD_1
	v_fma_f16 v22, v54, v22, -v38
	v_mul_f16_sdwa v38, v51, v23 dst_sel:DWORD dst_unused:UNUSED_PAD src0_sel:DWORD src1_sel:WORD_1
	v_fma_f16 v38, v35, v23, v38
	v_mul_f16_sdwa v35, v35, v23 dst_sel:DWORD dst_unused:UNUSED_PAD src0_sel:DWORD src1_sel:WORD_1
	v_fma_f16 v23, v51, v23, -v35
	ds_read_u16 v35, v9 offset:3888
	ds_read_u16 v51, v9 offset:4374
	s_waitcnt vmcnt(2) lgkmcnt(2)
	v_mul_f16_sdwa v54, v49, v24 dst_sel:DWORD dst_unused:UNUSED_PAD src0_sel:DWORD src1_sel:WORD_1
	v_fma_f16 v54, v39, v24, v54
	v_mul_f16_sdwa v39, v39, v24 dst_sel:DWORD dst_unused:UNUSED_PAD src0_sel:DWORD src1_sel:WORD_1
	v_fma_f16 v24, v49, v24, -v39
	v_mul_f16_sdwa v39, v53, v25 dst_sel:DWORD dst_unused:UNUSED_PAD src0_sel:DWORD src1_sel:WORD_1
	v_fma_f16 v39, v36, v25, v39
	v_mul_f16_sdwa v36, v36, v25 dst_sel:DWORD dst_unused:UNUSED_PAD src0_sel:DWORD src1_sel:WORD_1
	v_fma_f16 v25, v53, v25, -v36
	s_waitcnt vmcnt(1) lgkmcnt(1)
	v_mul_f16_sdwa v53, v35, v26 dst_sel:DWORD dst_unused:UNUSED_PAD src0_sel:DWORD src1_sel:WORD_1
	v_fma_f16 v53, v41, v26, v53
	v_mul_f16_sdwa v41, v41, v26 dst_sel:DWORD dst_unused:UNUSED_PAD src0_sel:DWORD src1_sel:WORD_1
	v_fma_f16 v26, v35, v26, -v41
	v_mul_f16_sdwa v35, v34, v27 dst_sel:DWORD dst_unused:UNUSED_PAD src0_sel:DWORD src1_sel:WORD_1
	v_fma_f16 v35, v37, v27, v35
	v_mul_f16_sdwa v37, v37, v27 dst_sel:DWORD dst_unused:UNUSED_PAD src0_sel:DWORD src1_sel:WORD_1
	ds_read_u16 v36, v9 offset:1944
	ds_read_u16 v49, v14
	v_fma_f16 v27, v34, v27, -v37
	ds_read_u16 v34, v9 offset:6804
	s_waitcnt vmcnt(0) lgkmcnt(3)
	v_mul_f16_sdwa v37, v51, v28 dst_sel:DWORD dst_unused:UNUSED_PAD src0_sel:DWORD src1_sel:WORD_1
	v_mul_f16_sdwa v41, v42, v28 dst_sel:DWORD dst_unused:UNUSED_PAD src0_sel:DWORD src1_sel:WORD_1
	v_fma_f16 v37, v42, v28, v37
	v_fma_f16 v28, v51, v28, -v41
	s_waitcnt lgkmcnt(0)
	v_mul_f16_sdwa v41, v34, v29 dst_sel:DWORD dst_unused:UNUSED_PAD src0_sel:DWORD src1_sel:WORD_1
	v_mul_f16_sdwa v42, v52, v29 dst_sel:DWORD dst_unused:UNUSED_PAD src0_sel:DWORD src1_sel:WORD_1
	v_fma_f16 v41, v52, v29, v41
	v_fma_f16 v29, v34, v29, -v42
	v_add_f16_e32 v42, v55, v44
	v_add_f16_e32 v34, v30, v55
	v_fma_f16 v30, v42, -0.5, v30
	v_sub_f16_e32 v42, v18, v19
	v_fma_f16 v51, v42, s4, v30
	v_fma_f16 v30, v42, s5, v30
	v_add_f16_e32 v42, v40, v18
	v_add_f16_e32 v18, v18, v19
	v_add_f16_e32 v42, v42, v19
	v_fma_f16 v18, v18, -0.5, v40
	v_sub_f16_e32 v19, v55, v44
	v_add_f16_e32 v34, v34, v44
	v_fma_f16 v40, v19, s5, v18
	v_fma_f16 v44, v19, s4, v18
	v_add_f16_e32 v19, v50, v38
	v_add_f16_e32 v18, v32, v50
	v_fma_f16 v19, v19, -0.5, v32
	v_sub_f16_e32 v32, v22, v23
	v_fma_f16 v52, v32, s4, v19
	v_fma_f16 v19, v32, s5, v19
	v_add_f16_e32 v32, v43, v22
	v_add_f16_e32 v22, v22, v23
	v_add_f16_e32 v32, v32, v23
	v_fma_f16 v22, v22, -0.5, v43
	v_sub_f16_e32 v23, v50, v38
	v_add_f16_e32 v18, v18, v38
	v_fma_f16 v38, v23, s5, v22
	v_fma_f16 v43, v23, s4, v22
	;; [unrolled: 14-line block ×4, first 2 shown]
	v_add_f16_e32 v27, v37, v41
	v_add_f16_e32 v26, v46, v37
	v_fma_f16 v27, v27, -0.5, v46
	v_sub_f16_e32 v46, v28, v29
	v_fma_f16 v53, v46, s4, v27
	v_fma_f16 v27, v46, s5, v27
	v_add_f16_e32 v46, v36, v28
	v_add_f16_e32 v28, v28, v29
	;; [unrolled: 1-line block ×3, first 2 shown]
	v_fma_f16 v28, v28, -0.5, v36
	v_sub_f16_e32 v29, v37, v41
	v_fma_f16 v36, v29, s5, v28
	v_fma_f16 v37, v29, s4, v28
	v_mov_b32_e32 v28, 0x97e
	v_cndmask_b32_e64 v28, 0, v28, s[0:1]
	s_barrier
	ds_write_b16 v9, v34
	ds_write_b16 v9, v51 offset:810
	ds_write_b16 v9, v30 offset:1620
	v_add3_u32 v34, 0, v28, v20
	ds_write_b16 v34, v18
	ds_write_b16 v34, v52 offset:810
	ds_write_b16 v34, v19 offset:1620
	v_mul_u32_u24_sdwa v18, v21, s10 dst_sel:DWORD dst_unused:UNUSED_PAD src0_sel:BYTE_1 src1_sel:DWORD
	v_add_f16_e32 v26, v26, v41
	v_add3_u32 v41, 0, v18, v31
	ds_write_b16 v0, v22 offset:2592
	ds_write_b16 v0, v50 offset:3402
	ds_write_b16 v0, v23 offset:4212
	ds_write_b16 v41, v24
	ds_write_b16 v41, v54 offset:810
	ds_write_b16 v41, v25 offset:1620
	;; [unrolled: 1-line block ×5, first 2 shown]
	s_waitcnt lgkmcnt(0)
	s_barrier
	ds_read_u16 v18, v9
	ds_read_u16 v20, v9 offset:486
	ds_read_u16 v19, v9 offset:4860
	;; [unrolled: 1-line block ×11, first 2 shown]
	ds_read_u16 v16, v16
	ds_read_u16 v26, v14
	ds_read_u16 v31, v9 offset:6804
	s_waitcnt lgkmcnt(0)
	s_barrier
	ds_write_b16 v9, v42
	ds_write_b16 v9, v40 offset:810
	ds_write_b16 v9, v44 offset:1620
	ds_write_b16 v34, v32
	ds_write_b16 v34, v38 offset:810
	ds_write_b16 v34, v43 offset:1620
	;; [unrolled: 1-line block ×5, first 2 shown]
	ds_write_b16 v41, v48
	ds_write_b16 v41, v35 offset:810
	ds_write_b16 v41, v49 offset:1620
	;; [unrolled: 1-line block ×5, first 2 shown]
	s_waitcnt lgkmcnt(0)
	s_barrier
	s_and_saveexec_b64 s[0:1], vcc
	s_cbranch_execz .LBB0_15
; %bb.14:
	v_lshlrev_b32_e32 v0, 1, v17
	v_lshl_add_u64 v[32:33], v[0:1], 2, s[8:9]
	v_add_co_u32_e32 v32, vcc, 0x1000, v32
	v_lshlrev_b32_e32 v0, 1, v15
	s_movk_i32 s0, 0x1000
	v_addc_co_u32_e32 v33, vcc, 0, v33, vcc
	v_lshl_add_u64 v[34:35], v[0:1], 2, s[8:9]
	v_add_co_u32_e32 v34, vcc, s0, v34
	global_load_dwordx2 v[32:33], v[32:33], off offset:744
	s_nop 0
	v_addc_co_u32_e32 v35, vcc, 0, v35, vcc
	global_load_dwordx2 v[34:35], v[34:35], off offset:744
	v_lshlrev_b32_e32 v0, 1, v11
	v_lshl_add_u64 v[36:37], v[0:1], 2, s[8:9]
	v_add_co_u32_e32 v36, vcc, s0, v36
	v_lshlrev_b32_e32 v0, 1, v12
	s_nop 0
	v_addc_co_u32_e32 v37, vcc, 0, v37, vcc
	global_load_dwordx2 v[36:37], v[36:37], off offset:744
	v_sub_u32_e32 v11, 0, v13
	v_lshl_add_u64 v[12:13], v[0:1], 2, s[8:9]
	v_add_co_u32_e32 v12, vcc, s0, v12
	ds_read_u16 v14, v14
	ds_read_u16 v38, v9 offset:4374
	ds_read_u16 v39, v9 offset:3888
	;; [unrolled: 1-line block ×5, first 2 shown]
	v_addc_co_u32_e32 v13, vcc, 0, v13, vcc
	global_load_dwordx2 v[12:13], v[12:13], off offset:744
	v_add_co_u32_e32 v6, vcc, s0, v6
	ds_read_u16 v0, v9 offset:1944
	ds_read_u16 v43, v9 offset:486
	v_addc_co_u32_e32 v7, vcc, 0, v7, vcc
	global_load_dwordx2 v[6:7], v[6:7], off offset:744
	v_mul_lo_u32 v15, s3, v4
	v_mul_lo_u32 v17, s2, v5
	v_mad_u64_u32 v[4:5], s[2:3], s2, v4, 0
	v_add3_u32 v5, v5, v17, v15
	ds_read_u16 v15, v9 offset:6804
	ds_read_u16 v46, v9 offset:6318
	;; [unrolled: 1-line block ×3, first 2 shown]
	s_mov_b32 s1, 0x1af83441
	v_lshl_add_u64 v[4:5], v[4:5], 2, s[6:7]
	v_lshl_add_u64 v[2:3], v[2:3], 2, v[4:5]
	s_waitcnt vmcnt(4)
	v_mul_f16_sdwa v17, v30, v32 dst_sel:DWORD dst_unused:UNUSED_PAD src0_sel:DWORD src1_sel:WORD_1
	v_mul_f16_sdwa v44, v31, v33 dst_sel:DWORD dst_unused:UNUSED_PAD src0_sel:DWORD src1_sel:WORD_1
	s_waitcnt lgkmcnt(9)
	v_mul_f16_sdwa v45, v38, v32 dst_sel:DWORD dst_unused:UNUSED_PAD src0_sel:DWORD src1_sel:WORD_1
	s_waitcnt lgkmcnt(2)
	v_mul_f16_sdwa v47, v15, v33 dst_sel:DWORD dst_unused:UNUSED_PAD src0_sel:DWORD src1_sel:WORD_1
	s_waitcnt vmcnt(3)
	v_mul_f16_sdwa v48, v29, v34 dst_sel:DWORD dst_unused:UNUSED_PAD src0_sel:DWORD src1_sel:WORD_1
	v_mul_f16_sdwa v50, v39, v34 dst_sel:DWORD dst_unused:UNUSED_PAD src0_sel:DWORD src1_sel:WORD_1
	v_fma_f16 v17, v32, v38, -v17
	v_fma_f16 v15, v33, v15, -v44
	v_mul_f16_sdwa v49, v28, v35 dst_sel:DWORD dst_unused:UNUSED_PAD src0_sel:DWORD src1_sel:WORD_1
	s_waitcnt lgkmcnt(1)
	v_mul_f16_sdwa v52, v46, v35 dst_sel:DWORD dst_unused:UNUSED_PAD src0_sel:DWORD src1_sel:WORD_1
	v_fma_f16 v30, v30, v32, v45
	v_fma_f16 v31, v31, v33, v47
	v_fma_f16 v32, v34, v39, -v48
	v_fma_f16 v29, v29, v34, v50
	v_add_f16_e32 v34, v17, v15
	v_fma_f16 v33, v35, v46, -v49
	v_fma_f16 v28, v28, v35, v52
	v_sub_f16_e32 v35, v30, v31
	v_add_f16_e32 v38, v0, v17
	v_fma_f16 v0, v34, -0.5, v0
	v_fma_f16 v34, v35, s4, v0
	v_fma_f16 v35, v35, s5, v0
	v_add_f16_e32 v0, v29, v28
	v_add_f16_e32 v39, v30, v31
	;; [unrolled: 1-line block ×5, first 2 shown]
	v_fma_f16 v0, v0, -0.5, v26
	v_sub_f16_e32 v32, v32, v33
	v_add_f16_e32 v30, v30, v31
	v_add_f16_e32 v31, v46, v33
	v_fma_f16 v33, v32, s5, v0
	v_fma_f16 v32, v32, s4, v0
	v_add_f16_e32 v0, v26, v29
	v_add_f16_e32 v26, v0, v28
	v_add_u32_e32 v0, v10, v11
	ds_read_u16 v0, v0
	v_fma_f16 v27, v39, -0.5, v27
	s_waitcnt vmcnt(2)
	v_mul_f16_sdwa v10, v25, v36 dst_sel:DWORD dst_unused:UNUSED_PAD src0_sel:DWORD src1_sel:WORD_1
	v_mul_f16_sdwa v11, v24, v37 dst_sel:DWORD dst_unused:UNUSED_PAD src0_sel:DWORD src1_sel:WORD_1
	;; [unrolled: 1-line block ×3, first 2 shown]
	v_sub_f16_e32 v45, v29, v28
	ds_read_u16 v28, v9 offset:5346
	v_fma_f16 v10, v36, v40, -v10
	s_waitcnt lgkmcnt(2)
	v_fma_f16 v11, v37, v51, -v11
	v_fma_f16 v25, v25, v36, v39
	v_mul_f16_sdwa v36, v51, v37 dst_sel:DWORD dst_unused:UNUSED_PAD src0_sel:DWORD src1_sel:WORD_1
	v_add_f16_e32 v29, v10, v11
	v_fma_f16 v24, v24, v37, v36
	s_waitcnt lgkmcnt(1)
	v_fma_f16 v29, v29, -0.5, v0
	v_sub_f16_e32 v36, v25, v24
	v_add_f16_e32 v0, v0, v10
	v_fma_f16 v37, v36, s4, v29
	v_fma_f16 v29, v36, s5, v29
	v_add_f16_e32 v36, v0, v11
	v_add_f16_e32 v0, v25, v24
	v_fma_f16 v0, v0, -0.5, v16
	v_sub_f16_e32 v10, v10, v11
	v_fma_f16 v11, v10, s5, v0
	v_fma_f16 v10, v10, s4, v0
	v_add_f16_e32 v0, v16, v25
	v_add_f16_e32 v16, v0, v24
	s_waitcnt vmcnt(1)
	v_mul_f16_sdwa v0, v23, v12 dst_sel:DWORD dst_unused:UNUSED_PAD src0_sel:DWORD src1_sel:WORD_1
	v_mul_f16_sdwa v24, v22, v13 dst_sel:DWORD dst_unused:UNUSED_PAD src0_sel:DWORD src1_sel:WORD_1
	;; [unrolled: 1-line block ×3, first 2 shown]
	v_fma_f16 v0, v12, v41, -v0
	s_waitcnt lgkmcnt(0)
	v_fma_f16 v24, v13, v28, -v24
	v_fma_f16 v12, v23, v12, v40
	v_mul_f16_sdwa v23, v28, v13 dst_sel:DWORD dst_unused:UNUSED_PAD src0_sel:DWORD src1_sel:WORD_1
	v_add_f16_e32 v39, v0, v24
	v_fma_f16 v13, v22, v13, v23
	ds_read_u16 v25, v9 offset:4860
	v_fma_f16 v39, v39, -0.5, v43
	v_sub_f16_e32 v22, v12, v13
	v_fma_f16 v23, v22, s4, v39
	v_fma_f16 v22, v22, s5, v39
	v_add_f16_e32 v39, v12, v13
	ds_read_u16 v9, v9
	v_add_f16_e32 v28, v43, v0
	v_fma_f16 v39, v39, -0.5, v20
	v_sub_f16_e32 v0, v0, v24
	v_add_f16_e32 v28, v28, v24
	v_fma_f16 v24, v0, s5, v39
	v_fma_f16 v39, v0, s4, v39
	v_add_f16_e32 v0, v20, v12
	v_add_f16_e32 v12, v0, v13
	s_waitcnt vmcnt(0)
	v_mul_f16_sdwa v0, v21, v6 dst_sel:DWORD dst_unused:UNUSED_PAD src0_sel:DWORD src1_sel:WORD_1
	v_mul_f16_sdwa v13, v19, v7 dst_sel:DWORD dst_unused:UNUSED_PAD src0_sel:DWORD src1_sel:WORD_1
	;; [unrolled: 1-line block ×3, first 2 shown]
	v_fma_f16 v0, v6, v42, -v0
	s_waitcnt lgkmcnt(1)
	v_fma_f16 v13, v7, v25, -v13
	v_fma_f16 v6, v21, v6, v40
	v_mul_f16_sdwa v21, v25, v7 dst_sel:DWORD dst_unused:UNUSED_PAD src0_sel:DWORD src1_sel:WORD_1
	v_add_f16_e32 v20, v0, v13
	v_fma_f16 v7, v19, v7, v21
	s_waitcnt lgkmcnt(0)
	v_fma_f16 v20, v20, -0.5, v9
	v_sub_f16_e32 v19, v6, v7
	v_fma_f16 v21, v19, s4, v20
	v_fma_f16 v19, v19, s5, v20
	v_add_f16_e32 v20, v6, v7
	v_add_f16_e32 v9, v9, v0
	v_fma_f16 v20, v20, -0.5, v18
	v_sub_f16_e32 v0, v0, v13
	v_add_f16_e32 v9, v9, v13
	v_fma_f16 v13, v0, s5, v20
	v_fma_f16 v20, v0, s4, v20
	v_add_f16_e32 v0, v18, v6
	v_add_f16_e32 v6, v0, v7
	v_mul_hi_u32 v0, v8, s1
	v_lshrrev_b32_e32 v0, 7, v0
	v_mul_u32_u24_e32 v0, 0x4bf, v0
	v_sub_u32_e32 v0, v8, v0
	v_lshlrev_b32_e32 v0, 2, v0
	v_lshl_add_u64 v[4:5], v[2:3], 0, v[0:1]
	v_pack_b32_f16 v0, v6, v9
	v_add_co_u32_e32 v6, vcc, s0, v4
	s_movk_i32 s0, 0x2000
	s_nop 0
	v_addc_co_u32_e32 v7, vcc, 0, v5, vcc
	global_store_dword v[4:5], v0, off
	v_pack_b32_f16 v0, v20, v19
	v_add_co_u32_e32 v4, vcc, s0, v4
	global_store_dword v[6:7], v0, off offset:764
	v_pack_b32_f16 v0, v13, v21
	v_addc_co_u32_e32 v5, vcc, 0, v5, vcc
	global_store_dword v[4:5], v0, off offset:1528
	v_add_u32_e32 v0, 0xf3, v8
	v_mul_hi_u32 v4, v0, s1
	v_lshrrev_b32_e32 v4, 7, v4
	v_mul_u32_u24_e32 v5, 0x4bf, v4
	v_sub_u32_e32 v0, v0, v5
	s_movk_i32 s0, 0xe3d
	v_mad_u32_u24 v0, v4, s0, v0
	v_lshl_add_u64 v[4:5], v[0:1], 2, v[2:3]
	v_pack_b32_f16 v6, v12, v28
	global_store_dword v[4:5], v6, off
	v_add_u32_e32 v4, 0x4bf, v0
	v_mov_b32_e32 v5, v1
	v_lshl_add_u64 v[4:5], v[4:5], 2, v[2:3]
	v_pack_b32_f16 v6, v39, v22
	v_add_u32_e32 v0, 0x97e, v0
	global_store_dword v[4:5], v6, off
	v_lshl_add_u64 v[4:5], v[0:1], 2, v[2:3]
	v_pack_b32_f16 v0, v24, v23
	global_store_dword v[4:5], v0, off
	v_add_u32_e32 v0, 0x1e6, v8
	v_mul_hi_u32 v4, v0, s1
	v_lshrrev_b32_e32 v4, 7, v4
	v_mul_u32_u24_e32 v5, 0x4bf, v4
	v_sub_u32_e32 v0, v0, v5
	v_mad_u32_u24 v0, v4, s0, v0
	v_lshl_add_u64 v[4:5], v[0:1], 2, v[2:3]
	v_pack_b32_f16 v6, v16, v36
	global_store_dword v[4:5], v6, off
	v_add_u32_e32 v4, 0x4bf, v0
	v_mov_b32_e32 v5, v1
	v_lshl_add_u64 v[4:5], v[4:5], 2, v[2:3]
	v_pack_b32_f16 v6, v10, v29
	v_add_u32_e32 v0, 0x97e, v0
	global_store_dword v[4:5], v6, off
	v_lshl_add_u64 v[4:5], v[0:1], 2, v[2:3]
	v_pack_b32_f16 v0, v11, v37
	global_store_dword v[4:5], v0, off
	v_add_u32_e32 v0, 0x2d9, v8
	v_mul_hi_u32 v4, v0, s1
	v_lshrrev_b32_e32 v4, 7, v4
	v_mul_u32_u24_e32 v5, 0x4bf, v4
	v_sub_u32_e32 v0, v0, v5
	v_mad_u32_u24 v0, v4, s0, v0
	v_sub_f16_e32 v17, v17, v15
	v_fma_f16 v14, v44, -0.5, v14
	v_lshl_add_u64 v[4:5], v[0:1], 2, v[2:3]
	v_pack_b32_f16 v6, v26, v31
	v_add_f16_e32 v15, v38, v15
	v_fma_f16 v38, v17, s5, v27
	v_fma_f16 v17, v17, s4, v27
	;; [unrolled: 1-line block ×4, first 2 shown]
	global_store_dword v[4:5], v6, off
	v_add_u32_e32 v4, 0x4bf, v0
	v_mov_b32_e32 v5, v1
	v_lshl_add_u64 v[4:5], v[4:5], 2, v[2:3]
	v_pack_b32_f16 v6, v32, v14
	v_add_u32_e32 v0, 0x97e, v0
	global_store_dword v[4:5], v6, off
	v_lshl_add_u64 v[4:5], v[0:1], 2, v[2:3]
	v_pack_b32_f16 v0, v33, v27
	global_store_dword v[4:5], v0, off
	v_add_u32_e32 v0, 0x3cc, v8
	v_mul_hi_u32 v4, v0, s1
	v_lshrrev_b32_e32 v4, 7, v4
	v_mul_u32_u24_e32 v5, 0x4bf, v4
	v_sub_u32_e32 v0, v0, v5
	v_mad_u32_u24 v0, v4, s0, v0
	v_lshl_add_u64 v[4:5], v[0:1], 2, v[2:3]
	v_pack_b32_f16 v6, v30, v15
	global_store_dword v[4:5], v6, off
	v_add_u32_e32 v4, 0x4bf, v0
	v_mov_b32_e32 v5, v1
	v_add_u32_e32 v0, 0x97e, v0
	v_lshl_add_u64 v[4:5], v[4:5], 2, v[2:3]
	v_pack_b32_f16 v6, v17, v35
	v_lshl_add_u64 v[0:1], v[0:1], 2, v[2:3]
	v_pack_b32_f16 v2, v38, v34
	global_store_dword v[4:5], v6, off
	global_store_dword v[0:1], v2, off
.LBB0_15:
	s_endpgm
	.section	.rodata,"a",@progbits
	.p2align	6, 0x0
	.amdhsa_kernel fft_rtc_back_len3645_factors_5_3_3_3_3_3_3_wgs_243_tpt_243_halfLds_half_op_CI_CI_unitstride_sbrr_dirReg
		.amdhsa_group_segment_fixed_size 0
		.amdhsa_private_segment_fixed_size 0
		.amdhsa_kernarg_size 104
		.amdhsa_user_sgpr_count 2
		.amdhsa_user_sgpr_dispatch_ptr 0
		.amdhsa_user_sgpr_queue_ptr 0
		.amdhsa_user_sgpr_kernarg_segment_ptr 1
		.amdhsa_user_sgpr_dispatch_id 0
		.amdhsa_user_sgpr_kernarg_preload_length 0
		.amdhsa_user_sgpr_kernarg_preload_offset 0
		.amdhsa_user_sgpr_private_segment_size 0
		.amdhsa_uses_dynamic_stack 0
		.amdhsa_enable_private_segment 0
		.amdhsa_system_sgpr_workgroup_id_x 1
		.amdhsa_system_sgpr_workgroup_id_y 0
		.amdhsa_system_sgpr_workgroup_id_z 0
		.amdhsa_system_sgpr_workgroup_info 0
		.amdhsa_system_vgpr_workitem_id 0
		.amdhsa_next_free_vgpr 59
		.amdhsa_next_free_sgpr 28
		.amdhsa_accum_offset 60
		.amdhsa_reserve_vcc 1
		.amdhsa_float_round_mode_32 0
		.amdhsa_float_round_mode_16_64 0
		.amdhsa_float_denorm_mode_32 3
		.amdhsa_float_denorm_mode_16_64 3
		.amdhsa_dx10_clamp 1
		.amdhsa_ieee_mode 1
		.amdhsa_fp16_overflow 0
		.amdhsa_tg_split 0
		.amdhsa_exception_fp_ieee_invalid_op 0
		.amdhsa_exception_fp_denorm_src 0
		.amdhsa_exception_fp_ieee_div_zero 0
		.amdhsa_exception_fp_ieee_overflow 0
		.amdhsa_exception_fp_ieee_underflow 0
		.amdhsa_exception_fp_ieee_inexact 0
		.amdhsa_exception_int_div_zero 0
	.end_amdhsa_kernel
	.text
.Lfunc_end0:
	.size	fft_rtc_back_len3645_factors_5_3_3_3_3_3_3_wgs_243_tpt_243_halfLds_half_op_CI_CI_unitstride_sbrr_dirReg, .Lfunc_end0-fft_rtc_back_len3645_factors_5_3_3_3_3_3_3_wgs_243_tpt_243_halfLds_half_op_CI_CI_unitstride_sbrr_dirReg
                                        ; -- End function
	.section	.AMDGPU.csdata,"",@progbits
; Kernel info:
; codeLenInByte = 12716
; NumSgprs: 34
; NumVgprs: 59
; NumAgprs: 0
; TotalNumVgprs: 59
; ScratchSize: 0
; MemoryBound: 0
; FloatMode: 240
; IeeeMode: 1
; LDSByteSize: 0 bytes/workgroup (compile time only)
; SGPRBlocks: 4
; VGPRBlocks: 7
; NumSGPRsForWavesPerEU: 34
; NumVGPRsForWavesPerEU: 59
; AccumOffset: 60
; Occupancy: 8
; WaveLimiterHint : 1
; COMPUTE_PGM_RSRC2:SCRATCH_EN: 0
; COMPUTE_PGM_RSRC2:USER_SGPR: 2
; COMPUTE_PGM_RSRC2:TRAP_HANDLER: 0
; COMPUTE_PGM_RSRC2:TGID_X_EN: 1
; COMPUTE_PGM_RSRC2:TGID_Y_EN: 0
; COMPUTE_PGM_RSRC2:TGID_Z_EN: 0
; COMPUTE_PGM_RSRC2:TIDIG_COMP_CNT: 0
; COMPUTE_PGM_RSRC3_GFX90A:ACCUM_OFFSET: 14
; COMPUTE_PGM_RSRC3_GFX90A:TG_SPLIT: 0
	.text
	.p2alignl 6, 3212836864
	.fill 256, 4, 3212836864
	.type	__hip_cuid_ba77e5eb5e0ca181,@object ; @__hip_cuid_ba77e5eb5e0ca181
	.section	.bss,"aw",@nobits
	.globl	__hip_cuid_ba77e5eb5e0ca181
__hip_cuid_ba77e5eb5e0ca181:
	.byte	0                               ; 0x0
	.size	__hip_cuid_ba77e5eb5e0ca181, 1

	.ident	"AMD clang version 19.0.0git (https://github.com/RadeonOpenCompute/llvm-project roc-6.4.0 25133 c7fe45cf4b819c5991fe208aaa96edf142730f1d)"
	.section	".note.GNU-stack","",@progbits
	.addrsig
	.addrsig_sym __hip_cuid_ba77e5eb5e0ca181
	.amdgpu_metadata
---
amdhsa.kernels:
  - .agpr_count:     0
    .args:
      - .actual_access:  read_only
        .address_space:  global
        .offset:         0
        .size:           8
        .value_kind:     global_buffer
      - .offset:         8
        .size:           8
        .value_kind:     by_value
      - .actual_access:  read_only
        .address_space:  global
        .offset:         16
        .size:           8
        .value_kind:     global_buffer
      - .actual_access:  read_only
        .address_space:  global
        .offset:         24
        .size:           8
        .value_kind:     global_buffer
      - .actual_access:  read_only
        .address_space:  global
        .offset:         32
        .size:           8
        .value_kind:     global_buffer
      - .offset:         40
        .size:           8
        .value_kind:     by_value
      - .actual_access:  read_only
        .address_space:  global
        .offset:         48
        .size:           8
        .value_kind:     global_buffer
      - .actual_access:  read_only
        .address_space:  global
        .offset:         56
        .size:           8
        .value_kind:     global_buffer
      - .offset:         64
        .size:           4
        .value_kind:     by_value
      - .actual_access:  read_only
        .address_space:  global
        .offset:         72
        .size:           8
        .value_kind:     global_buffer
      - .actual_access:  read_only
        .address_space:  global
        .offset:         80
        .size:           8
        .value_kind:     global_buffer
      - .actual_access:  read_only
        .address_space:  global
        .offset:         88
        .size:           8
        .value_kind:     global_buffer
      - .actual_access:  write_only
        .address_space:  global
        .offset:         96
        .size:           8
        .value_kind:     global_buffer
    .group_segment_fixed_size: 0
    .kernarg_segment_align: 8
    .kernarg_segment_size: 104
    .language:       OpenCL C
    .language_version:
      - 2
      - 0
    .max_flat_workgroup_size: 243
    .name:           fft_rtc_back_len3645_factors_5_3_3_3_3_3_3_wgs_243_tpt_243_halfLds_half_op_CI_CI_unitstride_sbrr_dirReg
    .private_segment_fixed_size: 0
    .sgpr_count:     34
    .sgpr_spill_count: 0
    .symbol:         fft_rtc_back_len3645_factors_5_3_3_3_3_3_3_wgs_243_tpt_243_halfLds_half_op_CI_CI_unitstride_sbrr_dirReg.kd
    .uniform_work_group_size: 1
    .uses_dynamic_stack: false
    .vgpr_count:     59
    .vgpr_spill_count: 0
    .wavefront_size: 64
amdhsa.target:   amdgcn-amd-amdhsa--gfx950
amdhsa.version:
  - 1
  - 2
...

	.end_amdgpu_metadata
